;; amdgpu-corpus repo=ROCm/rocFFT kind=compiled arch=gfx950 opt=O3
	.text
	.amdgcn_target "amdgcn-amd-amdhsa--gfx950"
	.amdhsa_code_object_version 6
	.protected	bluestein_single_fwd_len442_dim1_sp_op_CI_CI ; -- Begin function bluestein_single_fwd_len442_dim1_sp_op_CI_CI
	.globl	bluestein_single_fwd_len442_dim1_sp_op_CI_CI
	.p2align	8
	.type	bluestein_single_fwd_len442_dim1_sp_op_CI_CI,@function
bluestein_single_fwd_len442_dim1_sp_op_CI_CI: ; @bluestein_single_fwd_len442_dim1_sp_op_CI_CI
; %bb.0:
	s_load_dwordx4 s[8:11], s[0:1], 0x28
	v_mul_u32_u24_e32 v1, 0x788, v0
	v_lshrrev_b32_e32 v2, 16, v1
	v_mad_u64_u32 v[58:59], s[2:3], s2, 7, v[2:3]
	v_mov_b32_e32 v57, 0
	v_mov_b32_e32 v59, v57
	s_waitcnt lgkmcnt(0)
	v_cmp_gt_u64_e32 vcc, s[8:9], v[58:59]
	s_and_saveexec_b64 s[2:3], vcc
	s_cbranch_execz .LBB0_23
; %bb.1:
	v_mul_lo_u16_e32 v1, 34, v2
	s_mov_b32 s2, 0x24924925
	v_sub_u16_e32 v56, v0, v1
	v_mul_hi_u32 v0, v58, s2
	v_sub_u32_e32 v1, v58, v0
	v_lshrrev_b32_e32 v1, 1, v1
	v_add_u32_e32 v0, v1, v0
	s_load_dwordx2 s[8:9], s[0:1], 0x0
	s_load_dwordx2 s[12:13], s[0:1], 0x38
	v_lshrrev_b32_e32 v0, 2, v0
	v_mul_lo_u32 v0, v0, 7
	v_sub_u32_e32 v0, v58, v0
	v_mul_u32_u24_e32 v240, 0x1ba, v0
	v_cmp_gt_u16_e32 vcc, 26, v56
	v_lshlrev_b32_e32 v59, 3, v56
	v_lshlrev_b32_e32 v244, 3, v240
	s_and_saveexec_b64 s[2:3], vcc
	s_cbranch_execz .LBB0_3
; %bb.2:
	s_load_dwordx2 s[4:5], s[0:1], 0x18
	v_mov_b32_e32 v0, s10
	v_mov_b32_e32 v1, s11
	;; [unrolled: 1-line block ×3, first 2 shown]
	v_or_b32_e32 v71, 0x1a0, v56
	s_waitcnt lgkmcnt(0)
	s_load_dwordx4 s[4:7], s[4:5], 0x0
	s_waitcnt lgkmcnt(0)
	v_mad_u64_u32 v[2:3], s[10:11], s6, v58, 0
	v_mad_u64_u32 v[4:5], s[10:11], s4, v56, 0
	v_mov_b32_e32 v6, v3
	v_mov_b32_e32 v8, v5
	v_mad_u64_u32 v[6:7], s[6:7], s7, v58, v[6:7]
	v_mov_b32_e32 v3, v6
	v_mad_u64_u32 v[6:7], s[6:7], s5, v56, v[8:9]
	v_mov_b32_e32 v5, v6
	v_lshl_add_u64 v[0:1], v[2:3], 3, v[0:1]
	v_lshl_add_u64 v[2:3], v[4:5], 3, v[0:1]
	global_load_dwordx2 v[4:5], v[2:3], off
	v_mad_u64_u32 v[2:3], s[6:7], s4, v64, v[2:3]
	s_mul_i32 s6, s5, 0xd0
	s_nop 0
	v_add_u32_e32 v3, s6, v3
	v_mad_u64_u32 v[6:7], s[10:11], s4, v64, v[2:3]
	v_add_u32_e32 v7, s6, v7
	v_mad_u64_u32 v[8:9], s[10:11], s4, v64, v[6:7]
	;; [unrolled: 2-line block ×3, first 2 shown]
	v_add_u32_e32 v19, s6, v19
	global_load_dwordx2 v[10:11], v59, s[8:9]
	global_load_dwordx2 v[12:13], v59, s[8:9] offset:208
	global_load_dwordx2 v[14:15], v59, s[8:9] offset:416
	;; [unrolled: 1-line block ×3, first 2 shown]
	s_nop 0
	global_load_dwordx2 v[2:3], v[2:3], off
	s_nop 0
	global_load_dwordx2 v[20:21], v[6:7], off
	global_load_dwordx2 v[22:23], v[8:9], off
	;; [unrolled: 1-line block ×3, first 2 shown]
	v_mad_u64_u32 v[6:7], s[10:11], s4, v64, v[18:19]
	v_add_u32_e32 v7, s6, v7
	global_load_dwordx2 v[8:9], v[6:7], off
	v_mad_u64_u32 v[6:7], s[10:11], s4, v64, v[6:7]
	v_add_u32_e32 v7, s6, v7
	global_load_dwordx2 v[18:19], v[6:7], off
	global_load_dwordx2 v[26:27], v59, s[8:9] offset:832
	v_mad_u64_u32 v[6:7], s[10:11], s4, v64, v[6:7]
	v_add_u32_e32 v7, s6, v7
	global_load_dwordx2 v[28:29], v[6:7], off
	global_load_dwordx2 v[30:31], v59, s[8:9] offset:1040
	global_load_dwordx2 v[32:33], v59, s[8:9] offset:1248
	;; [unrolled: 1-line block ×3, first 2 shown]
	v_mad_u64_u32 v[6:7], s[10:11], s4, v64, v[6:7]
	v_add_u32_e32 v7, s6, v7
	global_load_dwordx2 v[36:37], v[6:7], off
	v_mad_u64_u32 v[6:7], s[10:11], s4, v64, v[6:7]
	v_add_u32_e32 v7, s6, v7
	global_load_dwordx2 v[38:39], v[6:7], off
	v_mad_u64_u32 v[6:7], s[10:11], s4, v64, v[6:7]
	v_add_u32_e32 v7, s6, v7
	global_load_dwordx2 v[40:41], v59, s[8:9] offset:1664
	global_load_dwordx2 v[42:43], v[6:7], off
	v_mad_u64_u32 v[6:7], s[10:11], s4, v64, v[6:7]
	v_add_u32_e32 v7, s6, v7
	global_load_dwordx2 v[44:45], v59, s[8:9] offset:1872
	global_load_dwordx2 v[46:47], v[6:7], off
	global_load_dwordx2 v[48:49], v59, s[8:9] offset:2080
	global_load_dwordx2 v[50:51], v59, s[8:9] offset:2288
	v_mad_u64_u32 v[6:7], s[10:11], s4, v64, v[6:7]
	v_add_u32_e32 v7, s6, v7
	global_load_dwordx2 v[52:53], v[6:7], off
	v_mad_u64_u32 v[6:7], s[10:11], s4, v64, v[6:7]
	v_add_u32_e32 v7, s6, v7
	global_load_dwordx2 v[54:55], v[6:7], off
	;; [unrolled: 3-line block ×3, first 2 shown]
	v_mad_u64_u32 v[6:7], s[10:11], s4, v64, v[6:7]
	v_add_u32_e32 v7, s6, v7
	v_mad_u64_u32 v[68:69], s[6:7], s4, v71, 0
	global_load_dwordx2 v[60:61], v59, s[8:9] offset:2496
	v_mov_b32_e32 v70, v69
	v_mad_u64_u32 v[70:71], s[4:5], s5, v71, v[70:71]
	global_load_dwordx2 v[64:65], v59, s[8:9] offset:2704
	global_load_dwordx2 v[66:67], v[6:7], off
	v_mov_b32_e32 v69, v70
	global_load_dwordx2 v[6:7], v59, s[8:9] offset:2912
	global_load_dwordx2 v[72:73], v59, s[8:9] offset:3120
	v_lshl_add_u64 v[0:1], v[68:69], 3, v[0:1]
	global_load_dwordx2 v[68:69], v[0:1], off
	global_load_dwordx2 v[70:71], v59, s[8:9] offset:3328
	s_waitcnt vmcnt(32)
	v_mul_f32_e32 v0, v4, v11
	v_fma_f32 v1, v5, v10, -v0
	v_mul_f32_e32 v0, v5, v11
	v_fmac_f32_e32 v0, v4, v10
	v_lshl_add_u32 v4, v56, 3, v244
	ds_write_b64 v4, v[0:1]
	s_waitcnt vmcnt(28)
	v_mul_f32_e32 v0, v3, v13
	v_mul_f32_e32 v1, v2, v13
	v_fmac_f32_e32 v0, v2, v12
	v_fma_f32 v1, v3, v12, -v1
	s_waitcnt vmcnt(27)
	v_mul_f32_e32 v2, v21, v15
	v_mul_f32_e32 v3, v20, v15
	v_add_u32_e32 v4, v244, v59
	v_fmac_f32_e32 v2, v20, v14
	v_fma_f32 v3, v21, v14, -v3
	ds_write2_b64 v4, v[0:1], v[2:3] offset0:26 offset1:52
	s_waitcnt vmcnt(26)
	v_mul_f32_e32 v0, v23, v17
	v_mul_f32_e32 v1, v22, v17
	s_waitcnt vmcnt(22)
	v_mul_f32_e32 v2, v25, v27
	v_mul_f32_e32 v3, v24, v27
	v_fmac_f32_e32 v0, v22, v16
	v_fma_f32 v1, v23, v16, -v1
	v_fmac_f32_e32 v2, v24, v26
	v_fma_f32 v3, v25, v26, -v3
	ds_write2_b64 v4, v[0:1], v[2:3] offset0:78 offset1:104
	s_waitcnt vmcnt(20)
	v_mul_f32_e32 v0, v9, v31
	v_mul_f32_e32 v1, v8, v31
	s_waitcnt vmcnt(19)
	v_mul_f32_e32 v2, v19, v33
	v_mul_f32_e32 v3, v18, v33
	v_fmac_f32_e32 v0, v8, v30
	v_fma_f32 v1, v9, v30, -v1
	;; [unrolled: 11-line block ×4, first 2 shown]
	v_fmac_f32_e32 v2, v42, v48
	v_fma_f32 v3, v43, v48, -v3
	v_add_u32_e32 v5, 0x400, v4
	ds_write2_b64 v5, v[0:1], v[2:3] offset0:106 offset1:132
	s_waitcnt vmcnt(10)
	v_mul_f32_e32 v0, v47, v51
	v_mul_f32_e32 v1, v46, v51
	s_waitcnt vmcnt(6)
	v_mul_f32_e32 v2, v53, v61
	v_mul_f32_e32 v3, v52, v61
	v_fmac_f32_e32 v0, v46, v50
	v_fma_f32 v1, v47, v50, -v1
	v_fmac_f32_e32 v2, v52, v60
	v_fma_f32 v3, v53, v60, -v3
	v_add_u32_e32 v4, 0x800, v4
	ds_write2_b64 v4, v[0:1], v[2:3] offset0:30 offset1:56
	s_waitcnt vmcnt(5)
	v_mul_f32_e32 v0, v55, v65
	v_mul_f32_e32 v1, v54, v65
	s_waitcnt vmcnt(3)
	v_mul_f32_e32 v2, v63, v7
	v_mul_f32_e32 v3, v62, v7
	v_fmac_f32_e32 v0, v54, v64
	v_fma_f32 v1, v55, v64, -v1
	v_fmac_f32_e32 v2, v62, v6
	v_fma_f32 v3, v63, v6, -v3
	ds_write2_b64 v4, v[0:1], v[2:3] offset0:82 offset1:108
	s_waitcnt vmcnt(2)
	v_mul_f32_e32 v0, v67, v73
	v_mul_f32_e32 v1, v66, v73
	s_waitcnt vmcnt(0)
	v_mul_f32_e32 v2, v69, v71
	v_mul_f32_e32 v3, v68, v71
	v_fmac_f32_e32 v0, v66, v72
	v_fma_f32 v1, v67, v72, -v1
	v_fmac_f32_e32 v2, v68, v70
	v_fma_f32 v3, v69, v70, -v3
	ds_write2_b64 v4, v[0:1], v[2:3] offset0:134 offset1:160
.LBB0_3:
	s_or_b64 exec, exec, s[2:3]
	v_mov_b32_e32 v0, 0
	v_mov_b32_e32 v1, 0
	s_waitcnt lgkmcnt(0)
	s_barrier
	s_waitcnt lgkmcnt(0)
                                        ; implicit-def: $vgpr10
                                        ; implicit-def: $vgpr16
                                        ; implicit-def: $vgpr14
                                        ; implicit-def: $vgpr28
                                        ; implicit-def: $vgpr22
                                        ; implicit-def: $vgpr38
                                        ; implicit-def: $vgpr32
                                        ; implicit-def: $vgpr60
	s_and_saveexec_b64 s[2:3], vcc
	s_cbranch_execz .LBB0_5
; %bb.4:
	v_lshl_add_u32 v4, v240, 3, v59
	ds_read2_b64 v[0:3], v4 offset1:26
	ds_read2_b64 v[32:35], v4 offset0:52 offset1:78
	ds_read2_b64 v[20:23], v4 offset0:104 offset1:130
	;; [unrolled: 1-line block ×4, first 2 shown]
	v_add_u32_e32 v5, 0x800, v4
	ds_read2_b64 v[16:19], v5 offset0:4 offset1:30
	ds_read2_b64 v[28:31], v5 offset0:56 offset1:82
	;; [unrolled: 1-line block ×3, first 2 shown]
	ds_read_b64 v[60:61], v4 offset:3328
.LBB0_5:
	s_or_b64 exec, exec, s[2:3]
	s_waitcnt lgkmcnt(0)
	v_pk_add_f32 v[44:45], v[2:3], v[60:61] neg_lo:[0,1] neg_hi:[0,1]
	s_mov_b32 s10, 0xbf763a35
	v_pk_add_f32 v[40:41], v[60:61], v[2:3]
	v_pk_add_f32 v[46:47], v[32:33], v[38:39] neg_lo:[0,1] neg_hi:[0,1]
	s_mov_b32 s6, 0xbe8c1d8e
	v_pk_mul_f32 v[4:5], v[44:45], s[10:11] op_sel_hi:[1,0]
	s_mov_b32 s22, 0x3f06c442
	v_pk_add_f32 v[42:43], v[38:39], v[32:33]
	v_pk_add_f32 v[50:51], v[34:35], v[36:37] neg_lo:[0,1] neg_hi:[0,1]
	s_mov_b32 s16, 0xbf59a7d5
	v_pk_mul_f32 v[6:7], v[46:47], s[22:23] op_sel_hi:[1,0]
	s_mov_b32 s18, 0x3f2c7751
	v_pk_fma_f32 v[86:87], v[40:41], s[6:7], v[4:5] op_sel:[0,0,1] op_sel_hi:[1,0,0]
	v_pk_fma_f32 v[66:67], v[40:41], s[6:7], v[4:5] op_sel:[0,0,1] op_sel_hi:[1,0,0] neg_lo:[0,0,1] neg_hi:[0,0,1]
	s_mov_b32 s2, 0x3f3d2fb0
	v_pk_add_f32 v[48:49], v[36:37], v[34:35]
	s_mov_b32 s28, 0xbf65296c
	v_pk_add_f32 v[80:81], v[20:21], v[30:31] neg_lo:[0,1] neg_hi:[0,1]
	v_pk_mul_f32 v[24:25], v[50:51], s[18:19] op_sel_hi:[1,0]
	v_mov_b32_e32 v4, v86
	v_mov_b32_e32 v5, v67
	v_pk_fma_f32 v[88:89], v[42:43], s[16:17], v[6:7] op_sel:[0,0,1] op_sel_hi:[1,0,0]
	v_pk_fma_f32 v[70:71], v[42:43], s[16:17], v[6:7] op_sel:[0,0,1] op_sel_hi:[1,0,0] neg_lo:[0,0,1] neg_hi:[0,0,1]
	s_mov_b32 s4, 0x3ee437d1
	v_pk_add_f32 v[54:55], v[30:31], v[20:21]
	v_pk_mul_f32 v[26:27], v[80:81], s[28:29] op_sel:[1,0] op_sel_hi:[0,0]
	v_mov_b32_e32 v6, v88
	v_mov_b32_e32 v7, v71
	v_pk_fma_f32 v[90:91], v[48:49], s[2:3], v[24:25] op_sel:[0,0,1] op_sel_hi:[1,0,0]
	v_pk_fma_f32 v[72:73], v[48:49], s[2:3], v[24:25] op_sel:[0,0,1] op_sel_hi:[1,0,0] neg_lo:[0,0,1] neg_hi:[0,0,1]
	v_pk_add_f32 v[4:5], v[4:5], v[0:1]
	v_mov_b32_e32 v24, v90
	v_mov_b32_e32 v25, v73
	v_pk_add_f32 v[4:5], v[6:7], v[4:5]
	v_pk_fma_f32 v[100:101], v[54:55], s[4:5], v[26:27] op_sel_hi:[1,0,1]
	v_pk_fma_f32 v[76:77], v[54:55], s[4:5], v[26:27] op_sel_hi:[1,0,1] neg_lo:[0,0,1] neg_hi:[0,0,1]
	v_pk_add_f32 v[82:83], v[22:23], v[28:29] neg_lo:[0,1] neg_hi:[0,1]
	s_mov_b32 s20, 0xbe3c28d5
	v_pk_add_f32 v[4:5], v[24:25], v[4:5]
	v_mov_b32_e32 v6, v100
	v_mov_b32_e32 v7, v77
	s_mov_b32 s14, 0xbf7ba420
	v_pk_add_f32 v[52:53], v[28:29], v[22:23]
	v_pk_add_f32 v[4:5], v[6:7], v[4:5]
	v_pk_mul_f32 v[6:7], v[82:83], s[20:21] op_sel:[1,0] op_sel_hi:[0,0]
	v_pk_fma_f32 v[102:103], v[52:53], s[14:15], v[6:7] op_sel_hi:[1,0,1]
	v_pk_fma_f32 v[78:79], v[52:53], s[14:15], v[6:7] op_sel_hi:[1,0,1] neg_lo:[0,0,1] neg_hi:[0,0,1]
	v_mov_b32_e32 v6, v102
	v_mov_b32_e32 v7, v79
	s_mov_b32 s26, 0x3f7ee86f
	v_pk_add_f32 v[118:119], v[12:13], v[18:19] neg_lo:[0,1] neg_hi:[0,1]
	v_pk_add_f32 v[4:5], v[6:7], v[4:5]
	s_mov_b32 s24, 0x3dbcf732
	v_pk_add_f32 v[62:63], v[18:19], v[12:13]
	v_pk_mul_f32 v[6:7], v[118:119], s[26:27] op_sel:[1,0] op_sel_hi:[0,0]
	v_pk_fma_f32 v[108:109], v[62:63], s[24:25], v[6:7] op_sel_hi:[1,0,1]
	v_pk_fma_f32 v[84:85], v[62:63], s[24:25], v[6:7] op_sel_hi:[1,0,1] neg_lo:[0,0,1] neg_hi:[0,0,1]
	v_mov_b32_e32 v6, v108
	v_mov_b32_e32 v7, v85
	s_mov_b32 s30, 0xbf7ee86f
	v_pk_add_f32 v[4:5], v[6:7], v[4:5]
	v_pk_mul_f32 v[6:7], v[44:45], s[30:31] op_sel_hi:[1,0]
	v_pk_mul_f32 v[24:25], v[46:47], s[20:21] op_sel_hi:[1,0]
	v_pk_fma_f32 v[92:93], v[40:41], s[24:25], v[6:7] op_sel:[0,0,1] op_sel_hi:[1,0,0]
	v_pk_fma_f32 v[94:95], v[40:41], s[24:25], v[6:7] op_sel:[0,0,1] op_sel_hi:[1,0,0] neg_lo:[0,0,1] neg_hi:[0,0,1]
	v_mov_b32_e32 v6, v92
	v_mov_b32_e32 v7, v95
	v_pk_fma_f32 v[96:97], v[42:43], s[14:15], v[24:25] op_sel:[0,0,1] op_sel_hi:[1,0,0]
	v_pk_fma_f32 v[98:99], v[42:43], s[14:15], v[24:25] op_sel:[0,0,1] op_sel_hi:[1,0,0] neg_lo:[0,0,1] neg_hi:[0,0,1]
	v_mov_b32_e32 v24, v96
	v_mov_b32_e32 v25, v99
	v_pk_add_f32 v[6:7], v[6:7], v[0:1]
	s_mov_b32 s48, 0x3f763a35
	v_pk_add_f32 v[6:7], v[24:25], v[6:7]
	v_pk_mul_f32 v[24:25], v[50:51], s[48:49] op_sel_hi:[1,0]
	s_mov_b32 s38, 0x3eb8f4ab
	v_pk_fma_f32 v[104:105], v[48:49], s[6:7], v[24:25] op_sel:[0,0,1] op_sel_hi:[1,0,0]
	v_pk_fma_f32 v[106:107], v[48:49], s[6:7], v[24:25] op_sel:[0,0,1] op_sel_hi:[1,0,0] neg_lo:[0,0,1] neg_hi:[0,0,1]
	v_mov_b32_e32 v24, v104
	v_mov_b32_e32 v25, v107
	v_pk_add_f32 v[6:7], v[24:25], v[6:7]
	s_mov_b32 s34, 0x3f6eb680
	v_pk_mul_f32 v[24:25], v[80:81], s[38:39] op_sel:[1,0] op_sel_hi:[0,0]
	v_pk_fma_f32 v[110:111], v[54:55], s[34:35], v[24:25] op_sel_hi:[1,0,1]
	v_pk_fma_f32 v[112:113], v[54:55], s[34:35], v[24:25] op_sel_hi:[1,0,1] neg_lo:[0,0,1] neg_hi:[0,0,1]
	v_mov_b32_e32 v24, v110
	v_mov_b32_e32 v25, v113
	v_pk_add_f32 v[6:7], v[24:25], v[6:7]
	v_pk_mul_f32 v[24:25], v[82:83], s[28:29] op_sel:[1,0] op_sel_hi:[0,0]
	v_pk_fma_f32 v[114:115], v[52:53], s[4:5], v[24:25] op_sel_hi:[1,0,1]
	v_pk_fma_f32 v[116:117], v[52:53], s[4:5], v[24:25] op_sel_hi:[1,0,1] neg_lo:[0,0,1] neg_hi:[0,0,1]
	v_mov_b32_e32 v24, v114
	v_mov_b32_e32 v25, v117
	s_mov_b32 s40, 0xbf06c442
	v_pk_add_f32 v[6:7], v[24:25], v[6:7]
	v_pk_mul_f32 v[24:25], v[118:119], s[40:41] op_sel:[1,0] op_sel_hi:[0,0]
	v_pk_fma_f32 v[120:121], v[62:63], s[16:17], v[24:25] op_sel_hi:[1,0,1]
	v_pk_fma_f32 v[126:127], v[62:63], s[16:17], v[24:25] op_sel_hi:[1,0,1] neg_lo:[0,0,1] neg_hi:[0,0,1]
	v_mov_b32_e32 v24, v120
	v_mov_b32_e32 v25, v127
	s_mov_b32 s44, 0x3f4c4adb
	v_pk_add_f32 v[140:141], v[14:15], v[16:17] neg_lo:[0,1] neg_hi:[0,1]
	v_pk_add_f32 v[6:7], v[24:25], v[6:7]
	s_mov_b32 s36, 0xbf1a4643
	v_pk_add_f32 v[64:65], v[16:17], v[14:15]
	v_pk_mul_f32 v[24:25], v[140:141], s[44:45] op_sel:[1,0] op_sel_hi:[0,0]
	v_pk_fma_f32 v[128:129], v[64:65], s[36:37], v[24:25] op_sel_hi:[1,0,1]
	v_pk_fma_f32 v[130:131], v[64:65], s[36:37], v[24:25] op_sel_hi:[1,0,1] neg_lo:[0,0,1] neg_hi:[0,0,1]
	v_mov_b32_e32 v24, v128
	v_mov_b32_e32 v25, v131
	s_mov_b32 s46, 0xbeb8f4ab
	v_pk_add_f32 v[6:7], v[24:25], v[6:7]
	v_pk_mul_f32 v[24:25], v[140:141], s[46:47] op_sel:[1,0] op_sel_hi:[0,0]
	v_pk_fma_f32 v[122:123], v[64:65], s[34:35], v[24:25] op_sel_hi:[1,0,1]
	v_pk_fma_f32 v[124:125], v[64:65], s[34:35], v[24:25] op_sel_hi:[1,0,1] neg_lo:[0,0,1] neg_hi:[0,0,1]
	v_mov_b32_e32 v24, v122
	v_mov_b32_e32 v25, v125
	v_pk_add_f32 v[148:149], v[8:9], v[10:11] neg_lo:[0,1] neg_hi:[0,1]
	v_pk_add_f32 v[4:5], v[24:25], v[4:5]
	v_pk_add_f32 v[68:69], v[10:11], v[8:9]
	v_pk_mul_f32 v[24:25], v[148:149], s[18:19] op_sel:[1,0] op_sel_hi:[0,0]
	v_pk_fma_f32 v[132:133], v[68:69], s[2:3], v[24:25] op_sel_hi:[1,0,1]
	v_pk_fma_f32 v[134:135], v[68:69], s[2:3], v[24:25] op_sel_hi:[1,0,1] neg_lo:[0,0,1] neg_hi:[0,0,1]
	s_mov_b32 s42, 0xbf4c4adb
	v_mov_b32_e32 v24, v132
	v_mov_b32_e32 v25, v135
	v_pk_add_f32 v[6:7], v[24:25], v[6:7]
	v_pk_mul_f32 v[24:25], v[148:149], s[42:43] op_sel:[1,0] op_sel_hi:[0,0]
	v_pk_fma_f32 v[136:137], v[68:69], s[36:37], v[24:25] op_sel_hi:[1,0,1]
	v_pk_fma_f32 v[138:139], v[68:69], s[36:37], v[24:25] op_sel_hi:[1,0,1] neg_lo:[0,0,1] neg_hi:[0,0,1]
	v_mov_b32_e32 v24, v136
	v_mov_b32_e32 v25, v139
	v_pk_add_f32 v[4:5], v[24:25], v[4:5]
	v_pk_mul_f32 v[24:25], v[44:45], s[46:47] op_sel_hi:[1,0]
	s_mov_b32 s52, 0xbf2c7751
	v_pk_fma_f32 v[156:157], v[40:41], s[34:35], v[24:25] op_sel:[0,0,1] op_sel_hi:[1,0,0]
	v_pk_fma_f32 v[154:155], v[40:41], s[34:35], v[24:25] op_sel:[0,0,1] op_sel_hi:[1,0,0] neg_lo:[0,0,1] neg_hi:[0,0,1]
	v_pk_mul_f32 v[26:27], v[46:47], s[52:53] op_sel_hi:[1,0]
	v_mov_b32_e32 v24, v156
	v_mov_b32_e32 v25, v155
	v_pk_fma_f32 v[160:161], v[42:43], s[2:3], v[26:27] op_sel:[0,0,1] op_sel_hi:[1,0,0]
	v_pk_fma_f32 v[158:159], v[42:43], s[2:3], v[26:27] op_sel:[0,0,1] op_sel_hi:[1,0,0] neg_lo:[0,0,1] neg_hi:[0,0,1]
	v_pk_add_f32 v[24:25], v[24:25], v[0:1]
	v_mov_b32_e32 v26, v160
	v_mov_b32_e32 v27, v159
	v_pk_add_f32 v[24:25], v[26:27], v[24:25]
	v_pk_mul_f32 v[26:27], v[44:45], s[52:53] op_sel_hi:[1,0]
	v_pk_mul_f32 v[168:169], v[80:81], s[48:49] op_sel:[1,0] op_sel_hi:[0,0]
	v_pk_fma_f32 v[170:171], v[40:41], s[2:3], v[26:27] op_sel:[0,0,1] op_sel_hi:[1,0,0]
	v_pk_fma_f32 v[146:147], v[40:41], s[2:3], v[26:27] op_sel:[0,0,1] op_sel_hi:[1,0,0] neg_lo:[0,0,1] neg_hi:[0,0,1]
	v_pk_mul_f32 v[26:27], v[46:47], s[30:31] op_sel_hi:[1,0]
	v_pk_mul_f32 v[180:181], v[82:83], s[18:19] op_sel:[1,0] op_sel_hi:[0,0]
	v_pk_fma_f32 v[172:173], v[42:43], s[24:25], v[26:27] op_sel:[0,0,1] op_sel_hi:[1,0,0]
	v_pk_fma_f32 v[150:151], v[42:43], s[24:25], v[26:27] op_sel:[0,0,1] op_sel_hi:[1,0,0] neg_lo:[0,0,1] neg_hi:[0,0,1]
	v_mov_b32_e32 v26, v170
	v_mov_b32_e32 v27, v147
	v_pk_add_f32 v[26:27], v[26:27], v[0:1]
	v_mov_b32_e32 v74, v172
	v_mov_b32_e32 v75, v151
	v_pk_add_f32 v[26:27], v[74:75], v[26:27]
	v_pk_mul_f32 v[74:75], v[46:47], s[42:43] op_sel_hi:[1,0]
	v_pk_mul_f32 v[196:197], v[118:119], s[46:47] op_sel:[1,0] op_sel_hi:[0,0]
	v_pk_fma_f32 v[186:187], v[42:43], s[36:37], v[74:75] op_sel:[0,0,1] op_sel_hi:[1,0,0]
	v_pk_fma_f32 v[142:143], v[42:43], s[36:37], v[74:75] op_sel:[0,0,1] op_sel_hi:[1,0,0] neg_lo:[0,0,1] neg_hi:[0,0,1]
	v_pk_mul_f32 v[74:75], v[44:45], s[28:29] op_sel_hi:[1,0]
	v_mov_b32_e32 v152, v186
	v_pk_fma_f32 v[188:189], v[40:41], s[4:5], v[74:75] op_sel:[0,0,1] op_sel_hi:[1,0,0]
	v_pk_fma_f32 v[144:145], v[40:41], s[4:5], v[74:75] op_sel:[0,0,1] op_sel_hi:[1,0,0] neg_lo:[0,0,1] neg_hi:[0,0,1]
	v_mov_b32_e32 v74, v188
	v_mov_b32_e32 v75, v145
	v_pk_add_f32 v[74:75], v[74:75], v[0:1]
	v_mov_b32_e32 v153, v143
	v_pk_add_f32 v[74:75], v[152:153], v[74:75]
	v_pk_mul_f32 v[152:153], v[50:51], s[28:29] op_sel_hi:[1,0]
	s_mov_b32 s28, 0x3e3c28d5
	v_pk_fma_f32 v[182:183], v[48:49], s[4:5], v[152:153] op_sel:[0,0,1] op_sel_hi:[1,0,0]
	v_pk_fma_f32 v[184:185], v[48:49], s[4:5], v[152:153] op_sel:[0,0,1] op_sel_hi:[1,0,0] neg_lo:[0,0,1] neg_hi:[0,0,1]
	v_mov_b32_e32 v152, v182
	v_mov_b32_e32 v153, v185
	v_pk_add_f32 v[24:25], v[152:153], v[24:25]
	v_pk_mul_f32 v[152:153], v[50:51], s[42:43] op_sel_hi:[1,0]
	s_mov_b32 s50, 0x3f65296c
	v_pk_fma_f32 v[162:163], v[48:49], s[36:37], v[152:153] op_sel:[0,0,1] op_sel_hi:[1,0,0]
	v_pk_fma_f32 v[164:165], v[48:49], s[36:37], v[152:153] op_sel:[0,0,1] op_sel_hi:[1,0,0] neg_lo:[0,0,1] neg_hi:[0,0,1]
	v_mov_b32_e32 v152, v162
	v_mov_b32_e32 v153, v165
	v_pk_add_f32 v[26:27], v[152:153], v[26:27]
	v_pk_mul_f32 v[152:153], v[50:51], s[28:29] op_sel_hi:[1,0]
	v_mul_lo_u16_e32 v156, 17, v56
	v_pk_fma_f32 v[206:207], v[48:49], s[14:15], v[152:153] op_sel:[0,0,1] op_sel_hi:[1,0,0]
	v_pk_fma_f32 v[152:153], v[48:49], s[14:15], v[152:153] op_sel:[0,0,1] op_sel_hi:[1,0,0] neg_lo:[0,0,1] neg_hi:[0,0,1]
	v_mov_b32_e32 v166, v206
	v_mov_b32_e32 v167, v153
	v_pk_add_f32 v[74:75], v[166:167], v[74:75]
	v_pk_mul_f32 v[166:167], v[80:81], s[30:31] op_sel:[1,0] op_sel_hi:[0,0]
	v_pk_fma_f32 v[198:199], v[54:55], s[24:25], v[166:167] op_sel_hi:[1,0,1]
	v_pk_fma_f32 v[200:201], v[54:55], s[24:25], v[166:167] op_sel_hi:[1,0,1] neg_lo:[0,0,1] neg_hi:[0,0,1]
	v_mov_b32_e32 v166, v198
	v_mov_b32_e32 v167, v201
	v_pk_add_f32 v[24:25], v[166:167], v[24:25]
	v_pk_mul_f32 v[166:167], v[80:81], s[20:21] op_sel:[1,0] op_sel_hi:[0,0]
	v_pk_fma_f32 v[174:175], v[54:55], s[14:15], v[166:167] op_sel_hi:[1,0,1]
	v_pk_fma_f32 v[176:177], v[54:55], s[14:15], v[166:167] op_sel_hi:[1,0,1] neg_lo:[0,0,1] neg_hi:[0,0,1]
	v_mov_b32_e32 v166, v174
	v_mov_b32_e32 v167, v177
	v_pk_add_f32 v[26:27], v[166:167], v[26:27]
	v_pk_fma_f32 v[166:167], v[54:55], s[6:7], v[168:169] op_sel_hi:[1,0,1]
	v_pk_fma_f32 v[168:169], v[54:55], s[6:7], v[168:169] op_sel_hi:[1,0,1] neg_lo:[0,0,1] neg_hi:[0,0,1]
	v_mov_b32_e32 v178, v166
	v_mov_b32_e32 v179, v169
	v_pk_add_f32 v[74:75], v[178:179], v[74:75]
	v_pk_mul_f32 v[178:179], v[82:83], s[10:11] op_sel:[1,0] op_sel_hi:[0,0]
	v_pk_fma_f32 v[212:213], v[52:53], s[6:7], v[178:179] op_sel_hi:[1,0,1]
	v_pk_fma_f32 v[214:215], v[52:53], s[6:7], v[178:179] op_sel_hi:[1,0,1] neg_lo:[0,0,1] neg_hi:[0,0,1]
	v_mov_b32_e32 v178, v212
	v_mov_b32_e32 v179, v215
	v_pk_add_f32 v[24:25], v[178:179], v[24:25]
	v_pk_mul_f32 v[178:179], v[82:83], s[22:23] op_sel:[1,0] op_sel_hi:[0,0]
	v_pk_fma_f32 v[190:191], v[52:53], s[16:17], v[178:179] op_sel_hi:[1,0,1]
	v_pk_fma_f32 v[192:193], v[52:53], s[16:17], v[178:179] op_sel_hi:[1,0,1] neg_lo:[0,0,1] neg_hi:[0,0,1]
	v_mov_b32_e32 v178, v190
	v_mov_b32_e32 v179, v193
	v_pk_add_f32 v[26:27], v[178:179], v[26:27]
	v_pk_fma_f32 v[178:179], v[52:53], s[2:3], v[180:181] op_sel_hi:[1,0,1]
	v_pk_fma_f32 v[180:181], v[52:53], s[2:3], v[180:181] op_sel_hi:[1,0,1] neg_lo:[0,0,1] neg_hi:[0,0,1]
	;; [unrolled: 17-line block ×3, first 2 shown]
	v_mov_b32_e32 v208, v194
	v_mov_b32_e32 v209, v197
	v_pk_add_f32 v[74:75], v[208:209], v[74:75]
	v_pk_mul_f32 v[208:209], v[140:141], s[40:41] op_sel:[1,0] op_sel_hi:[0,0]
	v_pk_fma_f32 v[232:233], v[64:65], s[16:17], v[208:209] op_sel_hi:[1,0,1]
	v_pk_fma_f32 v[234:235], v[64:65], s[16:17], v[208:209] op_sel_hi:[1,0,1] neg_lo:[0,0,1] neg_hi:[0,0,1]
	v_mov_b32_e32 v208, v232
	v_mov_b32_e32 v209, v235
	v_pk_add_f32 v[242:243], v[208:209], v[24:25]
	v_pk_mul_f32 v[24:25], v[140:141], s[50:51] op_sel:[1,0] op_sel_hi:[0,0]
	v_pk_fma_f32 v[220:221], v[64:65], s[4:5], v[24:25] op_sel_hi:[1,0,1]
	v_pk_fma_f32 v[222:223], v[64:65], s[4:5], v[24:25] op_sel_hi:[1,0,1] neg_lo:[0,0,1] neg_hi:[0,0,1]
	;; [unrolled: 6-line block ×5, first 2 shown]
	v_mov_b32_e32 v74, v216
	v_mov_b32_e32 v75, v219
	s_load_dwordx2 s[28:29], s[0:1], 0x20
	s_load_dwordx2 s[22:23], s[0:1], 0x8
	v_pk_add_f32 v[74:75], v[74:75], v[26:27]
	v_pk_mul_f32 v[26:27], v[148:149], s[20:21] op_sel:[1,0] op_sel_hi:[0,0]
	v_pk_fma_f32 v[238:239], v[68:69], s[14:15], v[26:27] op_sel_hi:[1,0,1]
	v_pk_fma_f32 v[236:237], v[68:69], s[14:15], v[26:27] op_sel_hi:[1,0,1] neg_lo:[0,0,1] neg_hi:[0,0,1]
	v_mov_b32_e32 v26, v238
	v_mov_b32_e32 v27, v237
	v_pk_add_f32 v[26:27], v[26:27], v[242:243]
	s_waitcnt lgkmcnt(0)
	s_barrier
	s_and_saveexec_b64 s[0:1], vcc
	s_cbranch_execz .LBB0_7
; %bb.6:
	v_pk_add_f32 v[2:3], v[2:3], v[0:1]
	v_mov_b32_e32 v155, v157
	v_pk_add_f32 v[2:3], v[32:33], v[2:3]
	v_mov_b32_e32 v159, v161
	v_pk_add_f32 v[2:3], v[34:35], v[2:3]
	v_mov_b32_e32 v185, v183
	v_pk_add_f32 v[2:3], v[20:21], v[2:3]
	v_mov_b32_e32 v201, v199
	v_pk_add_f32 v[2:3], v[22:23], v[2:3]
	v_mov_b32_e32 v215, v213
	v_pk_add_f32 v[2:3], v[12:13], v[2:3]
	v_mov_b32_e32 v227, v225
	v_pk_add_f32 v[2:3], v[14:15], v[2:3]
	v_mov_b32_e32 v235, v233
	v_pk_add_f32 v[2:3], v[8:9], v[2:3]
	v_mov_b32_e32 v237, v239
	v_pk_add_f32 v[2:3], v[10:11], v[2:3]
	v_mov_b32_e32 v11, v118
	v_pk_add_f32 v[2:3], v[16:17], v[2:3]
	v_mov_b32_e32 v145, v189
	v_pk_add_f32 v[2:3], v[18:19], v[2:3]
	v_pk_add_f32 v[18:19], v[154:155], v[0:1]
	;; [unrolled: 1-line block ×10, first 2 shown]
	v_mov_b32_e32 v147, v171
	v_pk_add_f32 v[18:19], v[226:227], v[18:19]
	v_pk_add_f32 v[16:17], v[60:61], v[16:17]
	;; [unrolled: 1-line block ×3, first 2 shown]
	v_add_lshl_u32 v118, v240, v156, 3
	v_pk_add_f32 v[18:19], v[236:237], v[18:19]
	v_mov_b32_e32 v143, v187
	v_mov_b32_e32 v151, v173
	ds_write2_b64 v118, v[16:17], v[18:19] offset1:1
	v_pk_add_f32 v[16:17], v[146:147], v[0:1]
	v_pk_add_f32 v[18:19], v[144:145], v[0:1]
	v_mov_b32_e32 v153, v207
	v_pk_add_f32 v[16:17], v[150:151], v[16:17]
	v_mov_b32_e32 v165, v163
	v_pk_add_f32 v[18:19], v[142:143], v[18:19]
	v_pk_add_f32 v[16:17], v[164:165], v[16:17]
	v_mov_b32_e32 v177, v175
	v_pk_add_f32 v[18:19], v[152:153], v[18:19]
	v_mov_b32_e32 v169, v167
	;; [unrolled: 2-line block ×10, first 2 shown]
	v_mov_b32_e32 v67, v87
	v_pk_add_f32 v[16:17], v[230:231], v[16:17]
	v_pk_add_f32 v[18:19], v[218:219], v[18:19]
	v_mov_b32_e32 v95, v93
	v_mov_b32_e32 v71, v89
	ds_write2_b64 v118, v[16:17], v[18:19] offset0:2 offset1:3
	v_pk_add_f32 v[16:17], v[94:95], v[0:1]
	v_mov_b32_e32 v99, v97
	v_pk_add_f32 v[18:19], v[66:67], v[0:1]
	v_mov_b32_e32 v73, v91
	;; [unrolled: 2-line block ×9, first 2 shown]
	v_pk_add_f32 v[18:19], v[78:79], v[18:19]
	v_pk_add_f32 v[16:17], v[126:127], v[16:17]
	v_mov_b32_e32 v131, v129
	v_pk_add_f32 v[18:19], v[84:85], v[18:19]
	v_mov_b32_e32 v125, v123
	;; [unrolled: 2-line block ×4, first 2 shown]
	v_pk_add_f32 v[16:17], v[134:135], v[16:17]
	v_pk_add_f32 v[18:19], v[138:139], v[18:19]
	ds_write2_b64 v118, v[16:17], v[18:19] offset0:4 offset1:5
	v_pk_mul_f32 v[16:17], v[44:45], s[42:43] op_sel_hi:[1,0]
	v_pk_mul_f32 v[22:23], v[46:47], s[48:49] op_sel_hi:[1,0]
	v_pk_fma_f32 v[18:19], v[40:41], s[36:37], v[16:17] op_sel:[0,0,1] op_sel_hi:[1,0,0] neg_lo:[0,0,1] neg_hi:[0,0,1]
	v_pk_fma_f32 v[16:17], v[40:41], s[36:37], v[16:17] op_sel:[0,0,1] op_sel_hi:[1,0,0]
	v_mov_b32_e32 v20, v18
	v_mov_b32_e32 v21, v17
	v_pk_fma_f32 v[28:29], v[42:43], s[6:7], v[22:23] op_sel:[0,0,1] op_sel_hi:[1,0,0] neg_lo:[0,0,1] neg_hi:[0,0,1]
	v_pk_fma_f32 v[22:23], v[42:43], s[6:7], v[22:23] op_sel:[0,0,1] op_sel_hi:[1,0,0]
	v_pk_add_f32 v[20:21], v[20:21], v[0:1]
	v_mov_b32_e32 v30, v28
	v_mov_b32_e32 v31, v23
	v_pk_add_f32 v[20:21], v[30:31], v[20:21]
	v_pk_mul_f32 v[30:31], v[50:51], s[46:47] op_sel_hi:[1,0]
	v_mov_b32_e32 v14, v81
	v_pk_fma_f32 v[32:33], v[48:49], s[34:35], v[30:31] op_sel:[0,0,1] op_sel_hi:[1,0,0] neg_lo:[0,0,1] neg_hi:[0,0,1]
	v_pk_fma_f32 v[30:31], v[48:49], s[34:35], v[30:31] op_sel:[0,0,1] op_sel_hi:[1,0,0]
	v_mov_b32_e32 v15, v80
	v_mov_b32_e32 v34, v32
	;; [unrolled: 1-line block ×3, first 2 shown]
	v_pk_add_f32 v[20:21], v[34:35], v[20:21]
	v_pk_mul_f32 v[34:35], v[14:15], s[40:41] op_sel_hi:[1,0]
	v_mov_b32_e32 v12, v83
	v_pk_fma_f32 v[36:37], v[54:55], s[16:17], v[34:35] op_sel_hi:[1,0,1] neg_lo:[0,0,1] neg_hi:[0,0,1]
	v_pk_fma_f32 v[34:35], v[54:55], s[16:17], v[34:35] op_sel_hi:[1,0,1]
	v_mov_b32_e32 v13, v82
	v_mov_b32_e32 v38, v36
	;; [unrolled: 1-line block ×3, first 2 shown]
	v_pk_add_f32 v[20:21], v[38:39], v[20:21]
	v_pk_mul_f32 v[38:39], v[12:13], s[26:27] op_sel_hi:[1,0]
	v_mov_b32_e32 v10, v119
	v_pk_fma_f32 v[60:61], v[52:53], s[24:25], v[38:39] op_sel_hi:[1,0,1] neg_lo:[0,0,1] neg_hi:[0,0,1]
	v_pk_fma_f32 v[38:39], v[52:53], s[24:25], v[38:39] op_sel_hi:[1,0,1]
	v_mov_b32_e32 v66, v60
	v_mov_b32_e32 v67, v39
	v_pk_add_f32 v[20:21], v[66:67], v[20:21]
	v_pk_mul_f32 v[66:67], v[10:11], s[52:53] op_sel_hi:[1,0]
	v_mov_b32_e32 v8, v141
	v_pk_fma_f32 v[70:71], v[62:63], s[2:3], v[66:67] op_sel_hi:[1,0,1] neg_lo:[0,0,1] neg_hi:[0,0,1]
	v_pk_fma_f32 v[66:67], v[62:63], s[2:3], v[66:67] op_sel_hi:[1,0,1]
	v_mov_b32_e32 v9, v140
	v_mov_b32_e32 v72, v70
	;; [unrolled: 1-line block ×3, first 2 shown]
	v_pk_add_f32 v[20:21], v[72:73], v[20:21]
	v_pk_mul_f32 v[72:73], v[8:9], s[20:21] op_sel_hi:[1,0]
	v_mov_b32_e32 v2, v149
	v_pk_fma_f32 v[76:77], v[64:65], s[14:15], v[72:73] op_sel_hi:[1,0,1] neg_lo:[0,0,1] neg_hi:[0,0,1]
	v_pk_fma_f32 v[72:73], v[64:65], s[14:15], v[72:73] op_sel_hi:[1,0,1]
	v_mov_b32_e32 v3, v148
	v_mov_b32_e32 v78, v76
	;; [unrolled: 1-line block ×3, first 2 shown]
	v_pk_add_f32 v[20:21], v[78:79], v[20:21]
	v_pk_mul_f32 v[78:79], v[2:3], s[50:51] op_sel_hi:[1,0]
	v_pk_mul_f32 v[84:85], v[46:47], s[50:51] op_sel_hi:[1,0]
	v_pk_fma_f32 v[80:81], v[68:69], s[4:5], v[78:79] op_sel_hi:[1,0,1] neg_lo:[0,0,1] neg_hi:[0,0,1]
	v_pk_fma_f32 v[78:79], v[68:69], s[4:5], v[78:79] op_sel_hi:[1,0,1]
	v_mov_b32_e32 v82, v80
	v_mov_b32_e32 v83, v79
	v_pk_add_f32 v[20:21], v[82:83], v[20:21]
	v_pk_mul_f32 v[82:83], v[44:45], s[40:41] op_sel_hi:[1,0]
	v_pk_fma_f32 v[102:103], v[42:43], s[4:5], v[84:85] op_sel:[0,0,1] op_sel_hi:[1,0,0] neg_lo:[0,0,1] neg_hi:[0,0,1]
	v_pk_fma_f32 v[98:99], v[40:41], s[16:17], v[82:83] op_sel:[0,0,1] op_sel_hi:[1,0,0] neg_lo:[0,0,1] neg_hi:[0,0,1]
	v_pk_fma_f32 v[82:83], v[40:41], s[16:17], v[82:83] op_sel:[0,0,1] op_sel_hi:[1,0,0]
	v_mov_b32_e32 v100, v98
	v_mov_b32_e32 v101, v83
	v_pk_fma_f32 v[84:85], v[42:43], s[4:5], v[84:85] op_sel:[0,0,1] op_sel_hi:[1,0,0]
	v_pk_mul_f32 v[86:87], v[50:51], s[30:31] op_sel_hi:[1,0]
	v_pk_add_f32 v[100:101], v[100:101], v[0:1]
	v_mov_b32_e32 v104, v102
	v_mov_b32_e32 v105, v85
	v_pk_add_f32 v[100:101], v[104:105], v[100:101]
	v_pk_fma_f32 v[104:105], v[48:49], s[24:25], v[86:87] op_sel:[0,0,1] op_sel_hi:[1,0,0] neg_lo:[0,0,1] neg_hi:[0,0,1]
	v_pk_fma_f32 v[86:87], v[48:49], s[24:25], v[86:87] op_sel:[0,0,1] op_sel_hi:[1,0,0]
	v_pk_mul_f32 v[88:89], v[14:15], s[44:45] op_sel_hi:[1,0]
	v_mov_b32_e32 v106, v104
	v_mov_b32_e32 v107, v87
	v_pk_add_f32 v[100:101], v[106:107], v[100:101]
	v_pk_fma_f32 v[106:107], v[54:55], s[36:37], v[88:89] op_sel_hi:[1,0,1] neg_lo:[0,0,1] neg_hi:[0,0,1]
	v_pk_fma_f32 v[88:89], v[54:55], s[36:37], v[88:89] op_sel_hi:[1,0,1]
	v_pk_mul_f32 v[90:91], v[12:13], s[46:47] op_sel_hi:[1,0]
	v_mov_b32_e32 v108, v106
	v_mov_b32_e32 v109, v89
	v_pk_add_f32 v[100:101], v[108:109], v[100:101]
	v_pk_fma_f32 v[108:109], v[52:53], s[34:35], v[90:91] op_sel_hi:[1,0,1] neg_lo:[0,0,1] neg_hi:[0,0,1]
	v_pk_fma_f32 v[90:91], v[52:53], s[34:35], v[90:91] op_sel_hi:[1,0,1]
	;; [unrolled: 6-line block ×5, first 2 shown]
	v_mov_b32_e32 v116, v114
	v_mov_b32_e32 v117, v97
	v_pk_add_f32 v[100:101], v[116:117], v[100:101]
	ds_write2_b64 v118, v[20:21], v[100:101] offset0:6 offset1:7
	v_pk_mul_f32 v[20:21], v[44:45], s[20:21] op_sel_hi:[1,0]
	v_pk_mul_f32 v[46:47], v[46:47], s[38:39] op_sel_hi:[1,0]
	v_pk_fma_f32 v[44:45], v[40:41], s[14:15], v[20:21] op_sel:[0,0,1] op_sel_hi:[1,0,0] neg_lo:[0,0,1] neg_hi:[0,0,1]
	v_pk_fma_f32 v[20:21], v[40:41], s[14:15], v[20:21] op_sel:[0,0,1] op_sel_hi:[1,0,0]
	v_mov_b32_e32 v40, v44
	v_mov_b32_e32 v41, v21
	v_pk_fma_f32 v[100:101], v[42:43], s[34:35], v[46:47] op_sel:[0,0,1] op_sel_hi:[1,0,0] neg_lo:[0,0,1] neg_hi:[0,0,1]
	v_pk_fma_f32 v[42:43], v[42:43], s[34:35], v[46:47] op_sel:[0,0,1] op_sel_hi:[1,0,0]
	v_pk_add_f32 v[40:41], v[40:41], v[0:1]
	v_mov_b32_e32 v46, v100
	v_mov_b32_e32 v47, v43
	v_pk_add_f32 v[40:41], v[46:47], v[40:41]
	v_pk_mul_f32 v[46:47], v[50:51], s[40:41] op_sel_hi:[1,0]
	v_pk_mul_f32 v[14:15], v[14:15], s[18:19] op_sel_hi:[1,0]
	v_pk_fma_f32 v[50:51], v[48:49], s[16:17], v[46:47] op_sel:[0,0,1] op_sel_hi:[1,0,0] neg_lo:[0,0,1] neg_hi:[0,0,1]
	v_pk_fma_f32 v[46:47], v[48:49], s[16:17], v[46:47] op_sel:[0,0,1] op_sel_hi:[1,0,0]
	v_mov_b32_e32 v48, v50
	v_mov_b32_e32 v49, v47
	v_pk_add_f32 v[40:41], v[48:49], v[40:41]
	v_pk_fma_f32 v[48:49], v[54:55], s[2:3], v[14:15] op_sel_hi:[1,0,1] neg_lo:[0,0,1] neg_hi:[0,0,1]
	v_pk_fma_f32 v[14:15], v[54:55], s[2:3], v[14:15] op_sel_hi:[1,0,1]
	v_mov_b32_e32 v54, v48
	v_mov_b32_e32 v55, v15
	v_pk_mul_f32 v[12:13], v[12:13], s[42:43] op_sel_hi:[1,0]
	v_pk_add_f32 v[40:41], v[54:55], v[40:41]
	v_pk_fma_f32 v[54:55], v[52:53], s[36:37], v[12:13] op_sel_hi:[1,0,1] neg_lo:[0,0,1] neg_hi:[0,0,1]
	v_pk_fma_f32 v[12:13], v[52:53], s[36:37], v[12:13] op_sel_hi:[1,0,1]
	v_mov_b32_e32 v21, v45
	v_mov_b32_e32 v52, v54
	v_mov_b32_e32 v53, v13
	v_pk_mul_f32 v[10:11], v[10:11], s[50:51] op_sel_hi:[1,0]
	v_pk_add_f32 v[20:21], v[20:21], v[0:1]
	v_mov_b32_e32 v43, v101
	v_pk_add_f32 v[40:41], v[52:53], v[40:41]
	v_pk_fma_f32 v[52:53], v[62:63], s[4:5], v[10:11] op_sel_hi:[1,0,1] neg_lo:[0,0,1] neg_hi:[0,0,1]
	v_pk_fma_f32 v[10:11], v[62:63], s[4:5], v[10:11] op_sel_hi:[1,0,1]
	v_pk_add_f32 v[20:21], v[42:43], v[20:21]
	v_mov_b32_e32 v47, v51
	v_mov_b32_e32 v62, v52
	v_mov_b32_e32 v63, v11
	v_pk_mul_f32 v[8:9], v[8:9], s[10:11] op_sel_hi:[1,0]
	v_pk_add_f32 v[20:21], v[46:47], v[20:21]
	v_mov_b32_e32 v15, v49
	v_pk_add_f32 v[40:41], v[62:63], v[40:41]
	v_pk_fma_f32 v[62:63], v[64:65], s[6:7], v[8:9] op_sel_hi:[1,0,1] neg_lo:[0,0,1] neg_hi:[0,0,1]
	v_pk_fma_f32 v[8:9], v[64:65], s[6:7], v[8:9] op_sel_hi:[1,0,1]
	v_pk_add_f32 v[14:15], v[14:15], v[20:21]
	;; [unrolled: 10-line block ×3, first 2 shown]
	v_mov_b32_e32 v9, v63
	v_mov_b32_e32 v68, v64
	;; [unrolled: 1-line block ×3, first 2 shown]
	v_pk_add_f32 v[8:9], v[8:9], v[10:11]
	v_mov_b32_e32 v3, v65
	v_pk_add_f32 v[40:41], v[68:69], v[40:41]
	v_pk_add_f32 v[2:3], v[2:3], v[8:9]
	v_mov_b32_e32 v83, v99
	v_mov_b32_e32 v17, v19
	ds_write2_b64 v118, v[40:41], v[2:3] offset0:8 offset1:9
	v_pk_add_f32 v[2:3], v[82:83], v[0:1]
	v_mov_b32_e32 v85, v103
	v_pk_add_f32 v[0:1], v[16:17], v[0:1]
	v_mov_b32_e32 v23, v29
	;; [unrolled: 2-line block ×14, first 2 shown]
	v_pk_add_f32 v[2:3], v[96:97], v[2:3]
	v_pk_add_f32 v[0:1], v[78:79], v[0:1]
	ds_write2_b64 v118, v[2:3], v[0:1] offset0:10 offset1:11
	ds_write2_b64 v118, v[4:5], v[6:7] offset0:12 offset1:13
	;; [unrolled: 1-line block ×3, first 2 shown]
	ds_write_b64 v118, v[26:27] offset:128
.LBB0_7:
	s_or_b64 exec, exec, s[0:1]
	v_add_lshl_u32 v245, v240, v56, 3
	v_add_u32_e32 v8, 0x800, v245
	s_waitcnt lgkmcnt(0)
	s_barrier
	ds_read2_b64 v[20:23], v245 offset1:34
	ds_read2_b64 v[28:31], v245 offset0:221 offset1:255
	ds_read2_b64 v[12:15], v245 offset0:68 offset1:102
	;; [unrolled: 1-line block ×5, first 2 shown]
	v_cmp_gt_u16_e64 s[0:1], 17, v56
	s_and_saveexec_b64 s[2:3], s[0:1]
	s_cbranch_execz .LBB0_9
; %bb.8:
	v_add_u32_e32 v4, 0x600, v245
	ds_read2_b64 v[4:7], v4 offset0:12 offset1:233
.LBB0_9:
	s_or_b64 exec, exec, s[2:3]
	s_movk_i32 s2, 0xffef
	s_mov_b32 s3, -1
	v_lshl_add_u64 v[32:33], v[56:57], 0, s[2:3]
	v_cndmask_b32_e64 v35, v33, 0, s[0:1]
	v_cndmask_b32_e64 v34, v32, v56, s[0:1]
	v_lshl_add_u64 v[32:33], v[34:35], 3, s[22:23]
	v_add_u16_e32 v35, 34, v56
	s_movk_i32 s2, 0xf1
	v_add_u16_e32 v39, 0x44, v56
	v_mul_lo_u16_sdwa v36, v35, s2 dst_sel:DWORD dst_unused:UNUSED_PAD src0_sel:BYTE_0 src1_sel:DWORD
	v_mul_lo_u16_sdwa v40, v39, s2 dst_sel:DWORD dst_unused:UNUSED_PAD src0_sel:BYTE_0 src1_sel:DWORD
	v_lshrrev_b16_e32 v36, 12, v36
	v_lshrrev_b16_e32 v40, 12, v40
	v_mul_lo_u16_e32 v37, 17, v36
	v_mul_lo_u16_e32 v41, 17, v40
	v_sub_u16_e32 v35, v35, v37
	v_mov_b32_e32 v37, 3
	v_sub_u16_e32 v39, v39, v41
	v_lshlrev_b32_sdwa v38, v37, v35 dst_sel:DWORD dst_unused:UNUSED_PAD src0_sel:DWORD src1_sel:BYTE_0
	v_lshlrev_b32_sdwa v41, v37, v39 dst_sel:DWORD dst_unused:UNUSED_PAD src0_sel:DWORD src1_sel:BYTE_0
	global_load_dwordx2 v[66:67], v[32:33], off
	global_load_dwordx2 v[64:65], v38, s[22:23]
	global_load_dwordx2 v[62:63], v41, s[22:23]
	v_add_u16_e32 v32, 0xcc, v56
	v_mul_lo_u16_sdwa v33, v32, s2 dst_sel:DWORD dst_unused:UNUSED_PAD src0_sel:BYTE_0 src1_sel:DWORD
	v_lshrrev_b16_e32 v33, 12, v33
	v_mul_lo_u16_e32 v33, 17, v33
	v_sub_u16_e32 v157, v32, v33
	v_and_b32_e32 v32, 0xff, v157
	v_lshlrev_b32_e32 v33, 3, v32
	global_load_dwordx2 v[236:237], v33, s[22:23]
	v_add_u16_e32 v33, 0x66, v56
	v_mul_lo_u16_sdwa v38, v33, s2 dst_sel:DWORD dst_unused:UNUSED_PAD src0_sel:BYTE_0 src1_sel:DWORD
	v_lshrrev_b16_e32 v42, 12, v38
	v_mul_lo_u16_e32 v38, 17, v42
	v_sub_u16_e32 v33, v33, v38
	v_lshlrev_b32_sdwa v38, v37, v33 dst_sel:DWORD dst_unused:UNUSED_PAD src0_sel:DWORD src1_sel:BYTE_0
	global_load_dwordx2 v[68:69], v38, s[22:23]
	v_add_u16_e32 v38, 0x88, v56
	v_mul_lo_u16_sdwa v41, v38, s2 dst_sel:DWORD dst_unused:UNUSED_PAD src0_sel:BYTE_0 src1_sel:DWORD
	v_lshrrev_b16_e32 v43, 12, v41
	v_mul_lo_u16_e32 v41, 17, v43
	v_sub_u16_e32 v44, v38, v41
	v_lshlrev_b32_sdwa v38, v37, v44 dst_sel:DWORD dst_unused:UNUSED_PAD src0_sel:DWORD src1_sel:BYTE_0
	;; [unrolled: 7-line block ×3, first 2 shown]
	global_load_dwordx2 v[72:73], v37, s[22:23]
	v_cmp_lt_u16_e64 s[2:3], 16, v56
	s_load_dwordx4 s[4:7], s[28:29], 0x0
	s_waitcnt lgkmcnt(0)
	v_cndmask_b32_e64 v37, 0, 34, s[2:3]
	v_add_u32_e32 v34, v34, v37
	v_mul_u32_u24_e32 v37, 34, v40
	v_add_lshl_u32 v239, v240, v34, 3
	v_mad_legacy_u16 v34, v36, 34, v35
	v_add_u32_sdwa v35, v37, v39 dst_sel:DWORD dst_unused:UNUSED_PAD src0_sel:DWORD src1_sel:BYTE_0
	v_and_b32_e32 v34, 0xff, v34
	v_add_lshl_u32 v238, v240, v35, 3
	v_add_lshl_u32 v241, v240, v34, 3
	s_barrier
	s_waitcnt vmcnt(6)
	v_pk_mul_f32 v[34:35], v[28:29], v[66:67] op_sel:[0,1]
	s_nop 0
	v_pk_fma_f32 v[36:37], v[28:29], v[66:67], v[34:35] op_sel:[0,0,1] op_sel_hi:[1,1,0] neg_lo:[0,0,1] neg_hi:[0,0,1]
	v_pk_fma_f32 v[28:29], v[28:29], v[66:67], v[34:35] op_sel:[0,0,1] op_sel_hi:[1,0,0]
	s_waitcnt vmcnt(4)
	v_pk_mul_f32 v[34:35], v[16:17], v[62:63] op_sel:[0,1]
	v_mov_b32_e32 v37, v29
	v_pk_mul_f32 v[28:29], v[30:31], v[64:65] op_sel:[0,1]
	v_pk_add_f32 v[36:37], v[20:21], v[36:37] neg_lo:[0,1] neg_hi:[0,1]
	v_pk_fma_f32 v[40:41], v[30:31], v[64:65], v[28:29] op_sel:[0,0,1] op_sel_hi:[1,1,0] neg_lo:[0,0,1] neg_hi:[0,0,1]
	v_pk_fma_f32 v[28:29], v[30:31], v[64:65], v[28:29] op_sel:[0,0,1] op_sel_hi:[1,0,0]
	v_pk_fma_f32 v[30:31], v[16:17], v[62:63], v[34:35] op_sel:[0,0,1] op_sel_hi:[1,1,0] neg_lo:[0,0,1] neg_hi:[0,0,1]
	s_waitcnt vmcnt(3)
	v_pk_mul_f32 v[38:39], v[6:7], v[236:237] op_sel:[1,0]
	v_pk_fma_f32 v[16:17], v[16:17], v[62:63], v[34:35] op_sel:[0,0,1] op_sel_hi:[1,0,0]
	v_pk_fma_f32 v[34:35], v[6:7], v[236:237], v[38:39] op_sel:[0,0,1] op_sel_hi:[1,1,0] neg_lo:[0,0,1] neg_hi:[0,0,1]
	v_pk_fma_f32 v[6:7], v[6:7], v[236:237], v[38:39] op_sel:[0,0,1] op_sel_hi:[0,1,0]
	v_mov_b32_e32 v41, v29
	v_pk_fma_f32 v[20:21], v[20:21], 2.0, v[36:37] op_sel_hi:[1,0,1] neg_lo:[0,0,1] neg_hi:[0,0,1]
	v_mov_b32_e32 v31, v17
	v_mov_b32_e32 v35, v7
	v_pk_add_f32 v[6:7], v[22:23], v[40:41] neg_lo:[0,1] neg_hi:[0,1]
	ds_write2_b64 v239, v[20:21], v[36:37] offset1:17
	v_pk_add_f32 v[16:17], v[12:13], v[30:31] neg_lo:[0,1] neg_hi:[0,1]
	v_pk_fma_f32 v[20:21], v[22:23], 2.0, v[6:7] op_sel_hi:[1,0,1] neg_lo:[0,0,1] neg_hi:[0,0,1]
	v_pk_fma_f32 v[12:13], v[12:13], 2.0, v[16:17] op_sel_hi:[1,0,1] neg_lo:[0,0,1] neg_hi:[0,0,1]
	ds_write2_b64 v241, v[20:21], v[6:7] offset1:17
	ds_write2_b64 v238, v[12:13], v[16:17] offset1:17
	v_mul_u32_u24_e32 v6, 34, v42
	v_add_u32_sdwa v6, v6, v33 dst_sel:DWORD dst_unused:UNUSED_PAD src0_sel:DWORD src1_sel:BYTE_0
	v_add_lshl_u32 v242, v240, v6, 3
	s_waitcnt vmcnt(2)
	v_pk_mul_f32 v[6:7], v[18:19], v[68:69] op_sel:[0,1]
	v_pk_add_f32 v[28:29], v[4:5], v[34:35] neg_lo:[0,1] neg_hi:[0,1]
	v_pk_fma_f32 v[12:13], v[18:19], v[68:69], v[6:7] op_sel:[0,0,1] op_sel_hi:[1,1,0] neg_lo:[0,0,1] neg_hi:[0,0,1]
	v_pk_fma_f32 v[6:7], v[18:19], v[68:69], v[6:7] op_sel:[0,0,1] op_sel_hi:[1,0,0]
	s_nop 0
	v_mov_b32_e32 v13, v7
	v_pk_add_f32 v[6:7], v[14:15], v[12:13] neg_lo:[0,1] neg_hi:[0,1]
	s_nop 0
	v_pk_fma_f32 v[12:13], v[14:15], 2.0, v[6:7] op_sel_hi:[1,0,1] neg_lo:[0,0,1] neg_hi:[0,0,1]
	ds_write2_b64 v242, v[12:13], v[6:7] offset1:17
	v_mul_u32_u24_e32 v6, 34, v43
	v_add_u32_sdwa v6, v6, v44 dst_sel:DWORD dst_unused:UNUSED_PAD src0_sel:DWORD src1_sel:BYTE_0
	v_add_lshl_u32 v243, v240, v6, 3
	s_waitcnt vmcnt(1)
	v_pk_mul_f32 v[6:7], v[8:9], v[70:71] op_sel:[0,1]
	s_nop 0
	v_pk_fma_f32 v[12:13], v[8:9], v[70:71], v[6:7] op_sel:[0,0,1] op_sel_hi:[1,1,0] neg_lo:[0,0,1] neg_hi:[0,0,1]
	v_pk_fma_f32 v[6:7], v[8:9], v[70:71], v[6:7] op_sel:[0,0,1] op_sel_hi:[1,0,0]
	s_nop 0
	v_mov_b32_e32 v13, v7
	v_pk_add_f32 v[6:7], v[0:1], v[12:13] neg_lo:[0,1] neg_hi:[0,1]
	s_nop 0
	v_pk_fma_f32 v[0:1], v[0:1], 2.0, v[6:7] op_sel_hi:[1,0,1] neg_lo:[0,0,1] neg_hi:[0,0,1]
	ds_write2_b64 v243, v[0:1], v[6:7] offset1:17
	v_mul_u32_u24_e32 v0, 34, v45
	v_add_u32_sdwa v0, v0, v46 dst_sel:DWORD dst_unused:UNUSED_PAD src0_sel:DWORD src1_sel:BYTE_0
	v_add_lshl_u32 v57, v240, v0, 3
	s_waitcnt vmcnt(0)
	v_pk_mul_f32 v[0:1], v[10:11], v[72:73] op_sel:[0,1]
	s_nop 0
	v_pk_fma_f32 v[6:7], v[10:11], v[72:73], v[0:1] op_sel:[0,0,1] op_sel_hi:[1,1,0] neg_lo:[0,0,1] neg_hi:[0,0,1]
	v_pk_fma_f32 v[0:1], v[10:11], v[72:73], v[0:1] op_sel:[0,0,1] op_sel_hi:[1,0,0]
	s_nop 0
	v_mov_b32_e32 v7, v1
	v_pk_add_f32 v[0:1], v[2:3], v[6:7] neg_lo:[0,1] neg_hi:[0,1]
	s_nop 0
	v_pk_fma_f32 v[2:3], v[2:3], 2.0, v[0:1] op_sel_hi:[1,0,1] neg_lo:[0,0,1] neg_hi:[0,0,1]
	ds_write2_b64 v57, v[2:3], v[0:1] offset1:17
	s_and_saveexec_b64 s[2:3], s[0:1]
	s_cbranch_execz .LBB0_11
; %bb.10:
	v_add_lshl_u32 v2, v240, v32, 3
	v_pk_fma_f32 v[0:1], v[4:5], 2.0, v[28:29] op_sel_hi:[1,0,1] neg_lo:[0,0,1] neg_hi:[0,0,1]
	v_add_u32_e32 v2, 0x800, v2
	ds_write2_b64 v2, v[0:1], v[28:29] offset0:152 offset1:169
.LBB0_11:
	s_or_b64 exec, exec, s[2:3]
	s_movk_i32 s2, 0x60
	v_mov_b64_e32 v[0:1], s[22:23]
	v_mad_u64_u32 v[30:31], s[2:3], v56, s2, v[0:1]
	s_waitcnt lgkmcnt(0)
	s_barrier
	global_load_dwordx4 v[4:7], v[30:31], off offset:136
	global_load_dwordx4 v[0:3], v[30:31], off offset:152
	;; [unrolled: 1-line block ×6, first 2 shown]
	v_add_u32_e32 v50, 0x800, v245
	ds_read2_b64 v[30:33], v245 offset1:34
	ds_read2_b64 v[34:37], v245 offset0:68 offset1:102
	ds_read2_b64 v[38:41], v245 offset0:136 offset1:170
	;; [unrolled: 1-line block ×3, first 2 shown]
	ds_read_b64 v[54:55], v245 offset:3264
	ds_read2_b64 v[46:49], v50 offset0:16 offset1:50
	ds_read2_b64 v[50:53], v50 offset0:84 offset1:118
	s_mov_b32 s2, 0xbf29c268
	s_mov_b32 s22, 0xbf3f9e67
	;; [unrolled: 1-line block ×24, first 2 shown]
	v_lshl_add_u32 v252, v56, 3, v244
	s_waitcnt vmcnt(5)
	v_mov_b32_e32 v76, v5
	s_waitcnt lgkmcnt(6)
	v_pk_mul_f32 v[76:77], v[32:33], v[76:77] op_sel:[1,0] op_sel_hi:[0,1]
	v_pk_mul_f32 v[78:79], v[32:33], v[4:5] op_sel:[1,0] op_sel_hi:[0,1]
	s_waitcnt vmcnt(2) lgkmcnt(1)
	v_pk_mul_f32 v[100:101], v[46:47], v[10:11] op_sel:[1,0] op_sel_hi:[0,1]
	s_waitcnt vmcnt(1)
	v_mov_b32_e32 v100, v21
	s_waitcnt vmcnt(0) lgkmcnt(0)
	v_pk_mul_f32 v[110:111], v[52:53], v[16:17] op_sel:[1,0] op_sel_hi:[0,1]
	v_pk_mul_f32 v[102:103], v[48:49], v[20:21] op_sel:[1,0] op_sel_hi:[0,1]
	;; [unrolled: 1-line block ×3, first 2 shown]
	v_mov_b32_e32 v108, v17
	v_mov_b32_e32 v118, v101
	v_pk_mul_f32 v[120:121], v[48:49], v[100:101] op_sel:[1,0] op_sel_hi:[0,1]
	v_pk_fma_f32 v[100:101], v[32:33], v[4:5], v[76:77] neg_lo:[0,0,1] neg_hi:[0,0,1]
	v_mov_b32_e32 v32, v111
	v_pk_mul_f32 v[82:83], v[34:35], v[6:7] op_sel:[1,0] op_sel_hi:[0,1]
	v_mov_b32_e32 v84, v1
	v_pk_mul_f32 v[86:87], v[36:37], v[0:1] op_sel:[1,0] op_sel_hi:[0,1]
	v_mov_b32_e32 v88, v3
	v_pk_mul_f32 v[90:91], v[38:39], v[2:3] op_sel:[1,0] op_sel_hi:[0,1]
	v_pk_mul_f32 v[94:95], v[40:41], v[12:13] op_sel:[1,0] op_sel_hi:[0,1]
	v_pk_mul_f32 v[98:99], v[44:45], v[8:9] op_sel:[1,0] op_sel_hi:[0,1]
	v_mov_b32_e32 v122, v102
	v_mov_b32_e32 v123, v106
	;; [unrolled: 1-line block ×3, first 2 shown]
	v_pk_mul_f32 v[102:103], v[52:53], v[108:109] op_sel:[1,0] op_sel_hi:[0,1]
	v_pk_fma_f32 v[108:109], v[52:53], v[16:17], v[32:33] op_sel:[1,0,0] op_sel_hi:[0,1,1]
	v_mov_b32_e32 v32, v19
	v_mov_b32_e32 v92, v13
	;; [unrolled: 1-line block ×7, first 2 shown]
	v_pk_mul_f32 v[78:79], v[36:37], v[84:85] op_sel:[1,0] op_sel_hi:[0,1]
	v_pk_mul_f32 v[84:85], v[38:39], v[88:89] op_sel:[1,0] op_sel_hi:[0,1]
	v_mov_b32_e32 v88, v86
	v_mov_b32_e32 v89, v90
	;; [unrolled: 1-line block ×4, first 2 shown]
	v_pk_mul_f32 v[32:33], v[54:55], v[32:33] op_sel:[1,0] op_sel_hi:[0,1]
	v_mov_b32_e32 v80, v7
	v_pk_mul_f32 v[96:97], v[42:43], v[14:15] op_sel:[1,0] op_sel_hi:[0,1]
	v_pk_mul_f32 v[86:87], v[40:41], v[92:93] op_sel:[1,0] op_sel_hi:[0,1]
	v_mov_b32_e32 v92, v95
	v_pk_mul_f32 v[94:95], v[42:43], v[94:95] op_sel:[1,0] op_sel_hi:[0,1]
	v_pk_mul_f32 v[116:117], v[46:47], v[98:99] op_sel:[1,0] op_sel_hi:[0,1]
	v_pk_add_f32 v[98:99], v[112:113], v[82:83]
	v_pk_add_f32 v[88:89], v[88:89], v[90:91]
	v_pk_fma_f32 v[90:91], v[44:45], v[8:9], v[114:115] op_sel:[1,0,0] op_sel_hi:[0,1,1]
	v_pk_add_f32 v[128:129], v[122:123], v[106:107]
	v_pk_fma_f32 v[122:123], v[54:55], v[18:19], v[32:33] neg_lo:[0,0,1] neg_hi:[0,0,1]
	v_pk_mul_f32 v[32:33], v[54:55], v[18:19] op_sel:[1,0] op_sel_hi:[0,1]
	v_mov_b32_e32 v114, v31
	v_pk_mul_f32 v[80:81], v[34:35], v[80:81] op_sel:[1,0] op_sel_hi:[0,1]
	v_mov_b32_e32 v110, v97
	v_pk_fma_f32 v[112:113], v[36:37], v[0:1], v[78:79] neg_lo:[0,0,1] neg_hi:[0,0,1]
	v_pk_fma_f32 v[76:77], v[40:41], v[12:13], v[86:87] neg_lo:[0,0,1] neg_hi:[0,0,1]
	v_pk_fma_f32 v[78:79], v[40:41], v[12:13], v[92:93] op_sel:[1,0,0] op_sel_hi:[0,1,1]
	v_pk_fma_f32 v[82:83], v[42:43], v[14:15], v[94:95] neg_lo:[0,0,1] neg_hi:[0,0,1]
	v_pk_fma_f32 v[92:93], v[46:47], v[10:11], v[116:117] neg_lo:[0,0,1] neg_hi:[0,0,1]
	v_pk_fma_f32 v[94:95], v[46:47], v[10:11], v[118:119] op_sel:[1,0,0] op_sel_hi:[0,1,1]
	v_mov_b32_e32 v32, v33
	v_pk_add_f32 v[114:115], v[114:115], v[98:99]
	v_mov_b32_e32 v130, v99
	v_pk_fma_f32 v[80:81], v[34:35], v[6:7], v[80:81] neg_lo:[0,0,1] neg_hi:[0,0,1]
	v_pk_fma_f32 v[126:127], v[38:39], v[2:3], v[84:85] neg_lo:[0,0,1] neg_hi:[0,0,1]
	v_pk_fma_f32 v[84:85], v[42:43], v[14:15], v[110:111] op_sel:[1,0,0] op_sel_hi:[0,1,1]
	v_pk_fma_f32 v[116:117], v[48:49], v[20:21], v[120:121] neg_lo:[0,0,1] neg_hi:[0,0,1]
	v_pk_fma_f32 v[120:121], v[54:55], v[18:19], v[32:33] op_sel:[1,0,0] op_sel_hi:[0,1,1]
	v_mov_b32_e32 v32, v76
	v_mov_b32_e32 v33, v78
	;; [unrolled: 1-line block ×4, first 2 shown]
	v_pk_add_f32 v[110:111], v[30:31], v[100:101]
	v_pk_add_f32 v[114:115], v[114:115], v[130:131]
	v_mov_b32_e32 v96, v9
	v_pk_add_f32 v[124:125], v[32:33], v[34:35] neg_lo:[0,1] neg_hi:[0,1]
	v_pk_add_f32 v[110:111], v[110:111], v[80:81]
	v_pk_add_f32 v[114:115], v[114:115], v[88:89]
	v_mov_b32_e32 v130, v89
	v_pk_mul_f32 v[96:97], v[44:45], v[96:97] op_sel:[1,0] op_sel_hi:[0,1]
	v_pk_add_f32 v[118:119], v[32:33], v[34:35]
	v_pk_mul_f32 v[32:33], v[124:125], s[2:3] op_sel:[1,0] op_sel_hi:[0,0]
	v_pk_add_f32 v[110:111], v[110:111], v[112:113]
	v_pk_add_f32 v[114:115], v[114:115], v[130:131]
	v_pk_fma_f32 v[86:87], v[44:45], v[8:9], v[96:97] neg_lo:[0,0,1] neg_hi:[0,0,1]
	v_pk_fma_f32 v[132:133], v[118:119], s[22:23], v[32:33] op_sel_hi:[1,0,1]
	v_pk_fma_f32 v[36:37], v[118:119], s[22:23], v[32:33] op_sel_hi:[1,0,1] neg_lo:[0,0,1] neg_hi:[0,0,1]
	v_pk_mul_f32 v[32:33], v[124:125], s[14:15] op_sel:[1,0] op_sel_hi:[0,0]
	v_pk_add_f32 v[110:111], v[110:111], v[126:127]
	v_pk_add_f32 v[78:79], v[114:115], v[78:79]
	v_pk_fma_f32 v[96:97], v[52:53], v[16:17], v[102:103] neg_lo:[0,0,1] neg_hi:[0,0,1]
	v_pk_fma_f32 v[134:135], v[118:119], s[10:11], v[32:33] op_sel_hi:[1,0,1]
	v_pk_fma_f32 v[52:53], v[118:119], s[10:11], v[32:33] op_sel_hi:[1,0,1] neg_lo:[0,0,1] neg_hi:[0,0,1]
	v_mov_b32_e32 v32, v82
	v_mov_b32_e32 v33, v84
	;; [unrolled: 1-line block ×4, first 2 shown]
	v_pk_add_f32 v[76:77], v[110:111], v[76:77]
	v_pk_add_f32 v[78:79], v[78:79], v[84:85]
	v_pk_add_f32 v[48:49], v[32:33], v[34:35] neg_lo:[0,1] neg_hi:[0,1]
	v_pk_add_f32 v[76:77], v[76:77], v[82:83]
	v_pk_add_f32 v[78:79], v[78:79], v[90:91]
	v_mov_b32_e32 v104, v23
	v_pk_add_f32 v[42:43], v[32:33], v[34:35]
	v_pk_mul_f32 v[32:33], v[48:49], s[16:17] op_sel:[1,0] op_sel_hi:[0,0]
	v_pk_add_f32 v[76:77], v[76:77], v[86:87]
	v_pk_add_f32 v[78:79], v[78:79], v[94:95]
	v_pk_mul_f32 v[104:105], v[50:51], v[104:105] op_sel:[1,0] op_sel_hi:[0,1]
	v_pk_fma_f32 v[140:141], v[42:43], s[20:21], v[32:33] op_sel_hi:[1,0,1]
	v_pk_fma_f32 v[32:33], v[42:43], s[20:21], v[32:33] op_sel_hi:[1,0,1] neg_lo:[0,0,1] neg_hi:[0,0,1]
	v_pk_add_f32 v[76:77], v[76:77], v[92:93]
	v_pk_add_f32 v[78:79], v[78:79], v[128:129]
	v_pk_fma_f32 v[104:105], v[50:51], v[22:23], v[104:105] neg_lo:[0,0,1] neg_hi:[0,0,1]
	v_mov_b32_e32 v35, v33
	v_pk_add_f32 v[76:77], v[76:77], v[116:117]
	v_mov_b32_e32 v33, v78
	v_pk_add_f32 v[76:77], v[76:77], v[104:105]
	v_pk_add_f32 v[78:79], v[32:33], v[128:129]
	v_mov_b32_e32 v102, v96
	v_mov_b32_e32 v103, v108
	;; [unrolled: 1-line block ×5, first 2 shown]
	v_pk_add_f32 v[76:77], v[76:77], v[102:103]
	v_pk_add_f32 v[102:103], v[80:81], v[96:97]
	v_pk_add_f32 v[78:79], v[80:81], v[96:97] neg_lo:[0,1] neg_hi:[0,1]
	v_pk_add_f32 v[76:77], v[76:77], v[106:107]
	v_mov_b32_e32 v103, v78
	v_pk_add_f32 v[106:107], v[98:99], v[108:109] op_sel:[1,0] neg_lo:[0,1] neg_hi:[0,1]
	v_pk_add_f32 v[78:79], v[98:99], v[108:109] op_sel_hi:[1,0]
	v_pk_mul_f32 v[80:81], v[102:103], s[28:29]
	v_mov_b32_e32 v78, v106
	v_pk_fma_f32 v[158:159], v[106:107], s[24:25], v[80:81] neg_lo:[1,0,0] neg_hi:[1,0,0]
	v_pk_fma_f32 v[84:85], v[78:79], s[24:25], v[80:81]
	v_pk_fma_f32 v[80:81], v[78:79], s[24:25], v[80:81] neg_lo:[0,0,1] neg_hi:[0,0,1]
	v_mov_b32_e32 v159, v85
	v_mov_b32_e32 v85, v81
	s_mov_b32 s11, s14
	v_pk_add_f32 v[108:109], v[112:113], v[104:105]
	v_pk_add_f32 v[80:81], v[112:113], v[104:105] neg_lo:[0,1] neg_hi:[0,1]
	v_pk_mul_f32 v[86:87], v[102:103], s[10:11]
	v_mov_b32_e32 v109, v80
	v_pk_add_f32 v[114:115], v[88:89], v[128:129] op_sel:[0,1] neg_lo:[0,1] neg_hi:[0,1]
	v_pk_add_f32 v[80:81], v[88:89], v[128:129] op_sel_hi:[0,1]
	s_mov_b32 s11, s34
	v_pk_mul_f32 v[46:47], v[48:49], s[2:3] op_sel:[1,0] op_sel_hi:[0,0]
	s_mov_b32 s21, s16
	v_mov_b32_e32 v80, v114
	v_pk_mul_f32 v[94:95], v[108:109], s[10:11]
	v_pk_add_f32 v[112:113], v[126:127], v[116:117]
	v_pk_add_f32 v[126:127], v[126:127], v[116:117] neg_lo:[0,1] neg_hi:[0,1]
	v_pk_fma_f32 v[154:155], v[42:43], s[22:23], v[46:47] op_sel_hi:[1,0,1]
	v_pk_fma_f32 v[46:47], v[42:43], s[22:23], v[46:47] op_sel_hi:[1,0,1] neg_lo:[0,0,1] neg_hi:[0,0,1]
	s_mov_b32 s17, s20
	s_mov_b32 s23, s30
	v_pk_fma_f32 v[162:163], v[114:115], s[34:35], v[94:95] neg_lo:[1,0,0] neg_hi:[1,0,0]
	v_pk_fma_f32 v[90:91], v[80:81], s[34:35], v[94:95]
	v_pk_fma_f32 v[94:95], v[80:81], s[34:35], v[94:95] neg_lo:[0,0,1] neg_hi:[0,0,1]
	v_pk_mul_f32 v[104:105], v[108:109], s[20:21]
	v_mov_b32_e32 v113, v126
	v_pk_add_f32 v[116:117], v[88:89], v[128:129] op_sel:[1,0] neg_lo:[0,1] neg_hi:[0,1]
	v_pk_add_f32 v[88:89], v[88:89], v[128:129] op_sel_hi:[1,0]
	v_mov_b32_e32 v163, v91
	v_mov_b32_e32 v91, v95
	v_pk_fma_f32 v[164:165], v[114:115], s[16:17], v[104:105] neg_lo:[1,0,0] neg_hi:[1,0,0]
	v_pk_fma_f32 v[94:95], v[80:81], s[16:17], v[104:105]
	v_pk_fma_f32 v[130:131], v[80:81], s[16:17], v[104:105] neg_lo:[0,0,1] neg_hi:[0,0,1]
	v_mov_b32_e32 v88, v116
	v_pk_mul_f32 v[110:111], v[112:113], s[22:23]
	v_mov_b32_e32 v138, v116
	v_mov_b32_e32 v139, v126
	;; [unrolled: 1-line block ×3, first 2 shown]
	v_pk_fma_f32 v[152:153], v[116:117], s[30:31], v[110:111] neg_lo:[1,0,0] neg_hi:[1,0,0]
	v_pk_fma_f32 v[104:105], v[88:89], s[30:31], v[110:111]
	v_pk_fma_f32 v[128:129], v[88:89], s[30:31], v[110:111] neg_lo:[0,0,1] neg_hi:[0,0,1]
	v_mov_b32_e32 v95, v131
	v_mov_b32_e32 v130, v112
	;; [unrolled: 1-line block ×3, first 2 shown]
	v_pk_mul_f32 v[126:127], v[138:139], s[42:43] op_sel_hi:[1,0]
	v_mov_b32_e32 v153, v105
	v_pk_fma_f32 v[138:139], v[130:131], s[44:45], v[126:127] op_sel_hi:[1,0,1] neg_lo:[0,0,1] neg_hi:[0,0,1]
	v_pk_fma_f32 v[126:127], v[130:131], s[44:45], v[126:127] op_sel_hi:[1,0,1]
	v_mov_b32_e32 v105, v129
	v_pk_mul_f32 v[128:129], v[124:125], s[24:25] op_sel:[1,0] op_sel_hi:[0,0]
	v_mov_b32_e32 v38, v132
	v_mov_b32_e32 v39, v37
	;; [unrolled: 1-line block ×6, first 2 shown]
	v_pk_fma_f32 v[132:133], v[118:119], s[46:47], v[128:129] op_sel_hi:[1,0,1] neg_lo:[0,0,1] neg_hi:[0,0,1]
	v_pk_fma_f32 v[138:139], v[118:119], s[46:47], v[128:129] op_sel_hi:[1,0,1]
	v_pk_mul_f32 v[128:129], v[124:125], s[36:37] op_sel:[1,0] op_sel_hi:[0,0]
	v_mov_b32_e32 v142, v132
	v_mov_b32_e32 v143, v139
	v_mov_b32_e32 v139, v133
	v_pk_fma_f32 v[132:133], v[118:119], s[20:21], v[128:129] op_sel_hi:[1,0,1] neg_lo:[0,0,1] neg_hi:[0,0,1]
	v_pk_fma_f32 v[146:147], v[118:119], s[20:21], v[128:129] op_sel_hi:[1,0,1]
	v_mov_b32_e32 v148, v132
	v_mov_b32_e32 v149, v147
	;; [unrolled: 1-line block ×3, first 2 shown]
	v_pk_mul_f32 v[132:133], v[48:49], s[38:39] op_sel:[1,0] op_sel_hi:[0,0]
	v_mov_b32_e32 v34, v140
	v_mov_b32_e32 v33, v141
	v_pk_fma_f32 v[140:141], v[42:43], s[46:47], v[132:133] op_sel_hi:[1,0,1] neg_lo:[0,0,1] neg_hi:[0,0,1]
	v_pk_fma_f32 v[132:133], v[42:43], s[46:47], v[132:133] op_sel_hi:[1,0,1]
	v_mov_b32_e32 v54, v134
	v_mov_b32_e32 v55, v53
	v_pk_mul_f32 v[40:41], v[48:49], s[18:19] op_sel:[1,0] op_sel_hi:[0,0]
	v_mov_b32_e32 v53, v135
	v_mov_b32_e32 v134, v140
	v_mov_b32_e32 v135, v133
	v_mov_b32_e32 v133, v141
	v_pk_mul_f32 v[140:141], v[48:49], s[42:43] op_sel:[1,0] op_sel_hi:[0,0]
	v_pk_fma_f32 v[144:145], v[42:43], s[26:27], v[40:41] op_sel_hi:[1,0,1]
	v_pk_fma_f32 v[40:41], v[42:43], s[26:27], v[40:41] op_sel_hi:[1,0,1] neg_lo:[0,0,1] neg_hi:[0,0,1]
	v_mov_b32_e32 v50, v154
	v_mov_b32_e32 v51, v47
	;; [unrolled: 1-line block ×3, first 2 shown]
	v_pk_fma_f32 v[154:155], v[42:43], s[44:45], v[140:141] op_sel_hi:[1,0,1] neg_lo:[0,0,1] neg_hi:[0,0,1]
	v_pk_fma_f32 v[140:141], v[42:43], s[44:45], v[140:141] op_sel_hi:[1,0,1]
	v_mov_b32_e32 v44, v144
	v_mov_b32_e32 v45, v41
	s_mov_b32 s27, s18
	v_mov_b32_e32 v41, v145
	v_mov_b32_e32 v144, v154
	;; [unrolled: 1-line block ×4, first 2 shown]
	v_pk_add_f32 v[154:155], v[100:101], v[122:123]
	v_pk_add_f32 v[100:101], v[100:101], v[122:123] neg_lo:[0,1] neg_hi:[0,1]
	v_pk_add_f32 v[122:123], v[98:99], v[120:121] neg_lo:[0,1] neg_hi:[0,1]
	v_pk_add_f32 v[98:99], v[98:99], v[120:121]
	s_mov_b32 s19, s26
	v_pk_mul_f32 v[136:137], v[112:113], s[26:27]
	v_mov_b32_e32 v101, v98
	v_pk_mul_f32 v[98:99], v[124:125], s[42:43] op_sel:[1,0] op_sel_hi:[0,0]
	v_pk_fma_f32 v[166:167], v[116:117], s[18:19], v[136:137] neg_lo:[1,0,0] neg_hi:[1,0,0]
	v_pk_fma_f32 v[110:111], v[88:89], s[18:19], v[136:137]
	v_pk_fma_f32 v[136:137], v[88:89], s[18:19], v[136:137] neg_lo:[0,0,1] neg_hi:[0,0,1]
	v_pk_mul_f32 v[128:129], v[124:125], s[18:19] op_sel:[1,0] op_sel_hi:[0,0]
	v_mov_b32_e32 v155, v100
	v_mov_b32_e32 v100, v122
	v_pk_fma_f32 v[120:121], v[118:119], s[44:45], v[98:99] op_sel_hi:[1,0,1] neg_lo:[0,0,1] neg_hi:[0,0,1]
	v_pk_fma_f32 v[98:99], v[118:119], s[44:45], v[98:99] op_sel_hi:[1,0,1]
	s_mov_b32 s44, 0xbeedf032
	s_mov_b32 s45, s26
	v_mov_b32_e32 v167, v111
	v_mov_b32_e32 v111, v137
	v_pk_fma_f32 v[136:137], v[118:119], s[26:27], v[128:129] op_sel_hi:[1,0,1] neg_lo:[0,0,1] neg_hi:[0,0,1]
	v_pk_fma_f32 v[128:129], v[118:119], s[26:27], v[128:129] op_sel_hi:[1,0,1]
	v_pk_mul_f32 v[118:119], v[100:101], s[44:45]
	s_mov_b32 s46, s26
	s_mov_b32 s47, s44
	v_pk_fma_f32 v[124:125], v[154:155], s[46:47], v[118:119]
	v_pk_fma_f32 v[168:169], v[154:155], s[46:47], v[118:119] neg_lo:[1,0,0] neg_hi:[1,0,0]
	v_pk_fma_f32 v[118:119], v[154:155], s[46:47], v[118:119] neg_lo:[0,0,1] neg_hi:[0,0,1]
	s_mov_b32 s44, s41
	v_mov_b32_e32 v119, v125
	v_pk_add_f32 v[118:119], v[30:31], v[118:119]
	s_mov_b32 s45, s42
	s_mov_b32 s43, s41
	v_pk_add_f32 v[118:119], v[158:159], v[118:119]
	v_pk_mul_f32 v[158:159], v[102:103], s[44:45]
	v_mov_b32_e32 v168, v124
	v_pk_fma_f32 v[170:171], v[106:107], s[42:43], v[158:159] neg_lo:[1,0,0] neg_hi:[1,0,0]
	v_pk_fma_f32 v[172:173], v[78:79], s[42:43], v[158:159]
	v_pk_fma_f32 v[158:159], v[78:79], s[42:43], v[158:159] neg_lo:[0,0,1] neg_hi:[0,0,1]
	v_mov_b32_e32 v171, v173
	v_mov_b32_e32 v173, v159
	v_pk_mul_f32 v[158:159], v[154:155], s[28:29]
	v_pk_mul_f32 v[124:125], v[154:155], s[44:45]
	v_pk_fma_f32 v[174:175], v[122:123], s[24:25], v[158:159] neg_lo:[1,0,0] neg_hi:[1,0,0]
	v_pk_fma_f32 v[176:177], v[100:101], s[24:25], v[158:159]
	v_pk_fma_f32 v[158:159], v[100:101], s[24:25], v[158:159] neg_lo:[0,0,1] neg_hi:[0,0,1]
	v_mov_b32_e32 v175, v177
	v_pk_add_f32 v[174:175], v[30:31], v[174:175]
	v_pk_mul_f32 v[96:97], v[102:103], s[22:23]
	v_mov_b32_e32 v158, v176
	v_pk_fma_f32 v[176:177], v[122:123], s[42:43], v[124:125] neg_lo:[1,0,0] neg_hi:[1,0,0]
	v_pk_add_f32 v[170:171], v[170:171], v[174:175]
	v_pk_fma_f32 v[174:175], v[100:101], s[42:43], v[124:125]
	v_pk_fma_f32 v[150:151], v[106:107], s[30:31], v[96:97] neg_lo:[1,0,0] neg_hi:[1,0,0]
	v_pk_fma_f32 v[92:93], v[78:79], s[30:31], v[96:97]
	v_mov_b32_e32 v177, v175
	s_mov_b32 s23, s2
	v_pk_add_f32 v[158:159], v[30:31], v[158:159]
	v_mov_b32_e32 v151, v93
	v_pk_add_f32 v[176:177], v[30:31], v[176:177]
	s_mov_b32 s3, s22
	v_pk_add_f32 v[158:159], v[172:173], v[158:159]
	v_pk_mul_f32 v[172:173], v[154:155], s[22:23]
	s_mov_b32 s15, s10
	v_pk_add_f32 v[150:151], v[150:151], v[176:177]
	v_pk_fma_f32 v[176:177], v[122:123], s[2:3], v[172:173] neg_lo:[1,0,0] neg_hi:[1,0,0]
	v_pk_fma_f32 v[178:179], v[100:101], s[2:3], v[172:173]
	v_pk_fma_f32 v[160:161], v[106:107], s[14:15], v[86:87] neg_lo:[1,0,0] neg_hi:[1,0,0]
	v_pk_fma_f32 v[82:83], v[78:79], s[14:15], v[86:87]
	v_mov_b32_e32 v177, v179
	v_mov_b32_e32 v161, v83
	v_pk_add_f32 v[176:177], v[30:31], v[176:177]
	v_pk_mul_f32 v[184:185], v[102:103], s[26:27]
	v_pk_add_f32 v[160:161], v[160:161], v[176:177]
	v_pk_mul_f32 v[176:177], v[154:155], s[20:21]
	v_pk_mul_f32 v[102:103], v[102:103], s[20:21]
	v_pk_fma_f32 v[180:181], v[122:123], s[16:17], v[176:177] neg_lo:[1,0,0] neg_hi:[1,0,0]
	v_pk_fma_f32 v[182:183], v[100:101], s[16:17], v[176:177]
	v_pk_fma_f32 v[186:187], v[106:107], s[18:19], v[184:185] neg_lo:[1,0,0] neg_hi:[1,0,0]
	v_mov_b32_e32 v181, v183
	v_pk_fma_f32 v[188:189], v[78:79], s[18:19], v[184:185]
	v_pk_add_f32 v[118:119], v[162:163], v[118:119]
	v_pk_add_f32 v[162:163], v[164:165], v[170:171]
	v_pk_fma_f32 v[106:107], v[106:107], s[16:17], v[102:103] neg_lo:[1,0,0] neg_hi:[1,0,0]
	v_pk_fma_f32 v[164:165], v[78:79], s[16:17], v[102:103]
	v_pk_fma_f32 v[102:103], v[78:79], s[16:17], v[102:103] neg_lo:[0,0,1] neg_hi:[0,0,1]
	s_mov_b32 s45, s40
	v_pk_add_f32 v[180:181], v[30:31], v[180:181]
	v_mov_b32_e32 v187, v189
	v_mov_b32_e32 v107, v165
	;; [unrolled: 1-line block ×3, first 2 shown]
	v_pk_mul_f32 v[102:103], v[108:109], s[44:45]
	v_pk_add_f32 v[180:181], v[186:187], v[180:181]
	v_pk_fma_f32 v[170:171], v[114:115], s[40:41], v[102:103] neg_lo:[1,0,0] neg_hi:[1,0,0]
	v_pk_fma_f32 v[186:187], v[80:81], s[40:41], v[102:103]
	v_pk_fma_f32 v[102:103], v[80:81], s[40:41], v[102:103] neg_lo:[0,0,1] neg_hi:[0,0,1]
	v_mov_b32_e32 v171, v187
	v_mov_b32_e32 v187, v103
	v_pk_mul_f32 v[102:103], v[154:155], s[10:11]
	v_pk_fma_f32 v[96:97], v[78:79], s[30:31], v[96:97] neg_lo:[0,0,1] neg_hi:[0,0,1]
	v_pk_fma_f32 v[122:123], v[122:123], s[34:35], v[102:103] neg_lo:[1,0,0] neg_hi:[1,0,0]
	v_pk_fma_f32 v[154:155], v[100:101], s[34:35], v[102:103]
	v_pk_fma_f32 v[102:103], v[100:101], s[34:35], v[102:103] neg_lo:[0,0,1] neg_hi:[0,0,1]
	v_mov_b32_e32 v123, v155
	v_mov_b32_e32 v102, v154
	v_pk_add_f32 v[122:123], v[30:31], v[122:123]
	v_pk_add_f32 v[102:103], v[30:31], v[102:103]
	v_pk_add_f32 v[106:107], v[106:107], v[122:123]
	v_pk_mul_f32 v[122:123], v[108:109], s[26:27]
	v_pk_add_f32 v[102:103], v[164:165], v[102:103]
	v_pk_fma_f32 v[154:155], v[114:115], s[18:19], v[122:123] neg_lo:[1,0,0] neg_hi:[1,0,0]
	v_pk_fma_f32 v[164:165], v[80:81], s[18:19], v[122:123]
	v_pk_add_f32 v[106:107], v[170:171], v[106:107]
	v_mov_b32_e32 v155, v165
	v_pk_add_f32 v[150:151], v[154:155], v[150:151]
	v_pk_mul_f32 v[154:155], v[108:109], s[28:29]
	v_pk_add_f32 v[102:103], v[186:187], v[102:103]
	v_pk_fma_f32 v[170:171], v[114:115], s[24:25], v[154:155] neg_lo:[1,0,0] neg_hi:[1,0,0]
	v_pk_fma_f32 v[186:187], v[80:81], s[24:25], v[154:155]
	v_pk_mul_f32 v[108:109], v[108:109], s[22:23]
	v_mov_b32_e32 v171, v187
	v_pk_add_f32 v[160:161], v[170:171], v[160:161]
	v_pk_fma_f32 v[114:115], v[114:115], s[2:3], v[108:109] neg_lo:[1,0,0] neg_hi:[1,0,0]
	v_pk_fma_f32 v[170:171], v[80:81], s[2:3], v[108:109]
	v_pk_add_f32 v[152:153], v[152:153], v[162:163]
	v_mov_b32_e32 v115, v171
	v_pk_mul_f32 v[162:163], v[112:113], s[10:11]
	v_mov_b32_e32 v93, v97
	v_pk_fma_f32 v[96:97], v[80:81], s[18:19], v[122:123] neg_lo:[0,0,1] neg_hi:[0,0,1]
	v_pk_add_f32 v[114:115], v[114:115], v[180:181]
	v_pk_add_f32 v[106:107], v[166:167], v[106:107]
	v_pk_fma_f32 v[166:167], v[116:117], s[34:35], v[162:163] neg_lo:[1,0,0] neg_hi:[1,0,0]
	v_pk_fma_f32 v[180:181], v[88:89], s[34:35], v[162:163]
	v_mov_b32_e32 v165, v97
	v_pk_fma_f32 v[96:97], v[88:89], s[34:35], v[162:163] neg_lo:[0,0,1] neg_hi:[0,0,1]
	v_mov_b32_e32 v167, v181
	v_mov_b32_e32 v181, v97
	v_pk_fma_f32 v[96:97], v[100:101], s[42:43], v[124:125] neg_lo:[0,0,1] neg_hi:[0,0,1]
	s_mov_b32 s21, s36
	v_mov_b32_e32 v175, v97
	v_pk_add_f32 v[96:97], v[30:31], v[174:175]
	s_mov_b32 s39, s25
	v_pk_add_f32 v[92:93], v[92:93], v[96:97]
	v_pk_mul_f32 v[96:97], v[112:113], s[20:21]
	s_mov_b32 s20, s25
	v_pk_fma_f32 v[122:123], v[116:117], s[36:37], v[96:97] neg_lo:[1,0,0] neg_hi:[1,0,0]
	v_pk_fma_f32 v[124:125], v[88:89], s[36:37], v[96:97]
	s_mov_b32 s21, s38
	v_mov_b32_e32 v123, v125
	v_pk_mul_f32 v[112:113], v[112:113], s[20:21]
	v_pk_add_f32 v[122:123], v[122:123], v[160:161]
	v_pk_fma_f32 v[116:117], v[116:117], s[38:39], v[112:113] neg_lo:[1,0,0] neg_hi:[1,0,0]
	v_pk_fma_f32 v[160:161], v[88:89], s[38:39], v[112:113]
	v_pk_add_f32 v[94:95], v[94:95], v[158:159]
	v_mov_b32_e32 v117, v161
	v_pk_add_f32 v[114:115], v[116:117], v[114:115]
	v_pk_add_f32 v[116:117], v[30:31], v[168:169]
	;; [unrolled: 1-line block ×4, first 2 shown]
	v_mov_b32_e32 v117, v129
	v_pk_add_f32 v[84:85], v[90:91], v[84:85]
	v_pk_add_f32 v[52:53], v[52:53], v[152:153]
	;; [unrolled: 1-line block ×3, first 2 shown]
	v_mov_b32_e32 v129, v137
	v_pk_add_f32 v[38:39], v[38:39], v[84:85]
	v_pk_add_f32 v[84:85], v[54:55], v[94:95]
	v_pk_fma_f32 v[54:55], v[78:79], s[14:15], v[86:87] neg_lo:[0,0,1] neg_hi:[0,0,1]
	v_pk_fma_f32 v[78:79], v[78:79], s[18:19], v[184:185] neg_lo:[0,0,1] neg_hi:[0,0,1]
	v_mov_b32_e32 v83, v55
	v_pk_fma_f32 v[54:55], v[80:81], s[24:25], v[154:155] neg_lo:[0,0,1] neg_hi:[0,0,1]
	v_mov_b32_e32 v189, v79
	v_mov_b32_e32 v187, v55
	v_pk_fma_f32 v[54:55], v[88:89], s[36:37], v[96:97] neg_lo:[0,0,1] neg_hi:[0,0,1]
	v_pk_fma_f32 v[78:79], v[80:81], s[2:3], v[108:109] neg_lo:[0,0,1] neg_hi:[0,0,1]
	v_mov_b32_e32 v125, v55
	v_pk_fma_f32 v[54:55], v[100:101], s[2:3], v[172:173] neg_lo:[0,0,1] neg_hi:[0,0,1]
	v_pk_add_f32 v[118:119], v[130:131], v[118:119]
	v_mov_b32_e32 v179, v55
	v_pk_add_f32 v[54:55], v[30:31], v[178:179]
	v_pk_add_f32 v[102:103], v[110:111], v[102:103]
	;; [unrolled: 1-line block ×3, first 2 shown]
	v_mov_b32_e32 v171, v79
	v_pk_add_f32 v[54:55], v[186:187], v[54:55]
	v_pk_fma_f32 v[78:79], v[88:89], s[38:39], v[112:113] neg_lo:[0,0,1] neg_hi:[0,0,1]
	v_pk_add_f32 v[54:55], v[124:125], v[54:55]
	v_pk_add_f32 v[92:93], v[164:165], v[92:93]
	;; [unrolled: 1-line block ×6, first 2 shown]
	v_pk_fma_f32 v[84:85], v[100:101], s[16:17], v[176:177] neg_lo:[0,0,1] neg_hi:[0,0,1]
	v_pk_add_f32 v[36:37], v[36:37], v[118:119]
	v_mov_b32_e32 v183, v85
	v_pk_add_f32 v[30:31], v[30:31], v[182:183]
	v_pk_add_f32 v[94:95], v[142:143], v[106:107]
	;; [unrolled: 1-line block ×4, first 2 shown]
	v_pk_mul_f32 v[48:49], v[48:49], s[14:15] op_sel:[1,0] op_sel_hi:[0,0]
	v_pk_add_f32 v[30:31], v[170:171], v[30:31]
	v_mov_b32_e32 v161, v79
	v_pk_add_f32 v[150:151], v[166:167], v[150:151]
	v_pk_add_f32 v[92:93], v[180:181], v[92:93]
	v_mov_b32_e32 v116, v136
	v_mov_b32_e32 v90, v120
	;; [unrolled: 1-line block ×3, first 2 shown]
	v_pk_add_f32 v[32:33], v[32:33], v[36:37]
	v_pk_add_f32 v[36:37], v[46:47], v[94:95]
	;; [unrolled: 1-line block ×4, first 2 shown]
	v_pk_fma_f32 v[82:83], v[42:43], s[10:11], v[48:49] op_sel_hi:[1,0,1] neg_lo:[0,0,1] neg_hi:[0,0,1]
	v_pk_fma_f32 v[48:49], v[42:43], s[10:11], v[48:49] op_sel_hi:[1,0,1]
	v_mov_b32_e32 v99, v121
	v_pk_add_f32 v[30:31], v[160:161], v[30:31]
	v_pk_add_f32 v[104:105], v[148:149], v[150:151]
	;; [unrolled: 1-line block ×5, first 2 shown]
	v_mov_b32_e32 v42, v82
	v_mov_b32_e32 v43, v49
	v_pk_add_f32 v[30:31], v[98:99], v[30:31]
	v_mov_b32_e32 v49, v83
	v_pk_add_f32 v[38:39], v[134:135], v[104:105]
	v_pk_add_f32 v[44:45], v[132:133], v[92:93]
	;; [unrolled: 1-line block ×5, first 2 shown]
	v_add_u32_e32 v31, 0x400, v252
	v_add_u32_e32 v30, 0x800, v252
	ds_write_b64 v252, v[76:77]
	ds_write2_b64 v252, v[32:33], v[34:35] offset0:34 offset1:68
	ds_write2_b64 v252, v[36:37], v[38:39] offset0:102 offset1:136
	;; [unrolled: 1-line block ×6, first 2 shown]
	s_waitcnt lgkmcnt(0)
	s_barrier
	s_and_saveexec_b64 s[2:3], vcc
	s_cbranch_execz .LBB0_13
; %bb.12:
	global_load_dwordx2 v[78:79], v59, s[8:9] offset:3536
	s_add_u32 s10, s8, 0xdd0
	s_addc_u32 s11, s9, 0
	global_load_dwordx2 v[106:107], v59, s[10:11] offset:208
	global_load_dwordx2 v[108:109], v59, s[10:11] offset:416
	;; [unrolled: 1-line block ×14, first 2 shown]
	ds_read_b64 v[80:81], v252
	global_load_dwordx2 v[134:135], v59, s[10:11] offset:3120
	global_load_dwordx2 v[136:137], v59, s[10:11] offset:3328
	s_waitcnt vmcnt(16) lgkmcnt(0)
	v_mul_f32_e32 v60, v81, v79
	v_mul_f32_e32 v83, v80, v79
	v_fma_f32 v82, v80, v78, -v60
	v_fmac_f32_e32 v83, v81, v78
	ds_write_b64 v252, v[82:83]
	ds_read2_b64 v[78:81], v252 offset0:26 offset1:52
	ds_read2_b64 v[82:85], v252 offset0:78 offset1:104
	;; [unrolled: 1-line block ×7, first 2 shown]
	s_waitcnt vmcnt(15) lgkmcnt(6)
	v_mul_f32_e32 v60, v79, v107
	v_mul_f32_e32 v139, v78, v107
	s_waitcnt vmcnt(14)
	v_mul_f32_e32 v61, v81, v109
	v_mul_f32_e32 v107, v80, v109
	s_waitcnt vmcnt(13) lgkmcnt(5)
	v_mul_f32_e32 v140, v83, v111
	v_mul_f32_e32 v109, v82, v111
	s_waitcnt vmcnt(12)
	v_mul_f32_e32 v141, v85, v113
	v_mul_f32_e32 v111, v84, v113
	;; [unrolled: 6-line block ×6, first 2 shown]
	v_fma_f32 v138, v78, v106, -v60
	v_fmac_f32_e32 v139, v79, v106
	v_fma_f32 v106, v80, v108, -v61
	v_fmac_f32_e32 v107, v81, v108
	;; [unrolled: 2-line block ×12, first 2 shown]
	ds_write2_b64 v252, v[138:139], v[106:107] offset0:26 offset1:52
	ds_write2_b64 v252, v[108:109], v[110:111] offset0:78 offset1:104
	;; [unrolled: 1-line block ×6, first 2 shown]
	ds_read2_b64 v[78:81], v30 offset0:134 offset1:160
	s_waitcnt vmcnt(3) lgkmcnt(7)
	v_mul_f32_e32 v150, v103, v131
	v_mul_f32_e32 v129, v102, v131
	s_waitcnt vmcnt(2)
	v_mul_f32_e32 v131, v105, v133
	v_mul_f32_e32 v83, v104, v133
	v_fma_f32 v128, v102, v130, -v150
	v_fmac_f32_e32 v129, v103, v130
	v_fma_f32 v82, v104, v132, -v131
	v_fmac_f32_e32 v83, v105, v132
	ds_write2_b64 v30, v[128:129], v[82:83] offset0:82 offset1:108
	s_waitcnt vmcnt(1) lgkmcnt(1)
	v_mul_f32_e32 v31, v79, v135
	v_mul_f32_e32 v83, v78, v135
	v_fma_f32 v82, v78, v134, -v31
	v_fmac_f32_e32 v83, v79, v134
	s_waitcnt vmcnt(0)
	v_mul_f32_e32 v31, v81, v137
	v_mul_f32_e32 v79, v80, v137
	v_fma_f32 v78, v80, v136, -v31
	v_fmac_f32_e32 v79, v81, v136
	ds_write2_b64 v30, v[82:83], v[78:79] offset0:134 offset1:160
.LBB0_13:
	s_or_b64 exec, exec, s[2:3]
	s_waitcnt lgkmcnt(0)
	s_barrier
	s_and_saveexec_b64 s[2:3], vcc
	s_cbranch_execz .LBB0_15
; %bb.14:
	ds_read_b64 v[76:77], v252
	ds_read2_b64 v[32:35], v252 offset0:26 offset1:52
	ds_read2_b64 v[36:39], v252 offset0:78 offset1:104
	;; [unrolled: 1-line block ×4, first 2 shown]
	v_add_u32_e32 v24, 0x400, v252
	v_add_u32_e32 v52, 0x800, v252
	ds_read2_b64 v[44:47], v24 offset0:106 offset1:132
	ds_read2_b64 v[24:27], v52 offset0:134 offset1:160
	;; [unrolled: 1-line block ×4, first 2 shown]
	s_waitcnt lgkmcnt(1)
	v_mov_b64_e32 v[74:75], v[30:31]
.LBB0_15:
	s_or_b64 exec, exec, s[2:3]
	s_mov_b32 s50, 0x3f763a35
	v_pk_add_f32 v[98:99], v[32:33], v[26:27] neg_lo:[0,1] neg_hi:[0,1]
	v_pk_add_f32 v[78:79], v[34:35], v[24:25] neg_lo:[0,1] neg_hi:[0,1]
	v_pk_add_f32 v[94:95], v[34:35], v[24:25]
	s_mov_b32 s51, 0xbe8c1d8e
	s_mov_b32 s28, 0xbf763a35
	v_pk_add_f32 v[96:97], v[26:27], v[32:33]
	v_mov_b32_e32 v30, v94
	v_mov_b32_e32 v31, v78
	;; [unrolled: 1-line block ×3, first 2 shown]
	s_mov_b32 s2, s51
	v_pk_mul_f32 v[78:79], v[98:99], s[28:29] op_sel_hi:[1,0]
	v_pk_add_f32 v[110:111], v[36:37], v[74:75]
	v_pk_fma_f32 v[112:113], v[96:97], s[2:3], v[78:79] op_sel:[0,0,1] op_sel_hi:[1,0,0] neg_lo:[0,0,1] neg_hi:[0,0,1]
	v_pk_fma_f32 v[144:145], v[96:97], s[2:3], v[78:79] op_sel:[0,0,1] op_sel_hi:[1,0,0]
	v_pk_add_f32 v[78:79], v[36:37], v[74:75] neg_lo:[0,1] neg_hi:[0,1]
	v_mov_b32_e32 v80, v110
	v_mov_b32_e32 v81, v78
	;; [unrolled: 1-line block ×3, first 2 shown]
	v_pk_add_f32 v[78:79], v[38:39], v[28:29] neg_lo:[0,1] neg_hi:[0,1]
	v_pk_add_f32 v[108:109], v[38:39], v[28:29]
	v_mov_b32_e32 v83, v78
	v_mov_b32_e32 v82, v108
	;; [unrolled: 1-line block ×3, first 2 shown]
	s_waitcnt lgkmcnt(0)
	v_pk_add_f32 v[78:79], v[40:41], v[54:55] neg_lo:[0,1] neg_hi:[0,1]
	v_pk_add_f32 v[106:107], v[40:41], v[54:55]
	v_mov_b32_e32 v85, v78
	v_mov_b32_e32 v84, v106
	v_mov_b32_e32 v106, v79
	v_pk_add_f32 v[78:79], v[42:43], v[52:53] neg_lo:[0,1] neg_hi:[0,1]
	v_pk_add_f32 v[104:105], v[42:43], v[52:53]
	v_mov_b32_e32 v87, v78
	v_mov_b32_e32 v86, v104
	v_mov_b32_e32 v104, v79
	;; [unrolled: 5-line block ×3, first 2 shown]
	v_pk_add_f32 v[78:79], v[50:51], v[44:45] neg_lo:[0,1] neg_hi:[0,1]
	v_pk_add_f32 v[100:101], v[50:51], v[44:45]
	s_mov_b32 s54, 0xbf7ee86f
	v_mov_b32_e32 v90, v100
	v_mov_b32_e32 v91, v78
	;; [unrolled: 1-line block ×5, first 2 shown]
	s_mov_b32 s55, 0x3dbcf732
	s_mov_b32 s46, 0xbe3c28d5
	v_pk_mul_f32 v[176:177], v[78:79], s[54:55]
	v_mov_b32_e32 v116, v96
	v_mov_b32_e32 v117, v98
	s_mov_b32 s14, s55
	s_mov_b32 s15, s54
	;; [unrolled: 1-line block ×3, first 2 shown]
	v_pk_fma_f32 v[78:79], v[116:117], s[14:15], v[176:177] neg_lo:[0,0,1] neg_hi:[0,0,1]
	v_pk_fma_f32 v[182:183], v[116:117], s[14:15], v[176:177]
	v_pk_mul_f32 v[184:185], v[94:95], s[46:47]
	s_mov_b32 s10, s47
	s_mov_b32 s11, s46
	v_mov_b32_e32 v79, v183
	v_pk_fma_f32 v[118:119], v[30:31], s[10:11], v[184:185] neg_lo:[0,0,1] neg_hi:[0,0,1]
	v_pk_fma_f32 v[186:187], v[30:31], s[10:11], v[184:185]
	v_pk_add_f32 v[78:79], v[76:77], v[78:79]
	v_mov_b32_e32 v119, v187
	v_pk_mul_f32 v[188:189], v[110:111], s[50:51]
	s_mov_b32 s18, s51
	s_mov_b32 s19, s50
	s_mov_b32 s48, 0x3eb8f4ab
	v_pk_add_f32 v[78:79], v[118:119], v[78:79]
	v_pk_fma_f32 v[118:119], v[80:81], s[18:19], v[188:189] neg_lo:[0,0,1] neg_hi:[0,0,1]
	v_pk_fma_f32 v[190:191], v[80:81], s[18:19], v[188:189]
	s_mov_b32 s49, 0x3f6eb680
	v_mov_b32_e32 v119, v191
	v_pk_mul_f32 v[192:193], v[108:109], s[48:49]
	s_mov_b32 s22, s49
	s_mov_b32 s23, s48
	;; [unrolled: 1-line block ×4, first 2 shown]
	v_pk_add_f32 v[78:79], v[118:119], v[78:79]
	v_pk_fma_f32 v[118:119], v[82:83], s[22:23], v[192:193] neg_lo:[0,0,1] neg_hi:[0,0,1]
	v_pk_fma_f32 v[194:195], v[82:83], s[22:23], v[192:193]
	s_mov_b32 s67, 0x3ee437d1
	s_mov_b32 s45, 0xbf59a7d5
	v_mov_b32_e32 v119, v195
	v_pk_mul_f32 v[196:197], v[106:107], s[66:67]
	s_mov_b32 s20, s67
	s_mov_b32 s21, s66
	v_pk_add_f32 v[78:79], v[118:119], v[78:79]
	v_pk_fma_f32 v[118:119], v[84:85], s[20:21], v[196:197] neg_lo:[0,0,1] neg_hi:[0,0,1]
	v_pk_fma_f32 v[198:199], v[84:85], s[20:21], v[196:197]
	s_mov_b32 s52, 0xbf06c442
	s_mov_b32 s53, s45
	v_mov_b32_e32 v119, v199
	v_pk_mul_f32 v[200:201], v[104:105], s[52:53]
	s_mov_b32 s16, s45
	s_mov_b32 s17, s52
	;; [unrolled: 1-line block ×3, first 2 shown]
	v_pk_add_f32 v[78:79], v[118:119], v[78:79]
	v_pk_fma_f32 v[118:119], v[86:87], s[16:17], v[200:201] neg_lo:[0,0,1] neg_hi:[0,0,1]
	v_pk_fma_f32 v[202:203], v[86:87], s[16:17], v[200:201]
	s_mov_b32 s65, 0xbf1a4643
	v_mov_b32_e32 v119, v203
	v_pk_mul_f32 v[204:205], v[102:103], s[64:65]
	s_mov_b32 s38, s65
	s_mov_b32 s39, s64
	;; [unrolled: 1-line block ×3, first 2 shown]
	v_pk_add_f32 v[78:79], v[118:119], v[78:79]
	v_pk_fma_f32 v[118:119], v[88:89], s[38:39], v[204:205] neg_lo:[0,0,1] neg_hi:[0,0,1]
	v_pk_fma_f32 v[206:207], v[88:89], s[38:39], v[204:205]
	s_mov_b32 s57, 0x3f3d2fb0
	v_mov_b32_e32 v119, v207
	v_pk_mul_f32 v[208:209], v[100:101], s[56:57]
	s_mov_b32 s30, s57
	s_mov_b32 s31, s56
	v_pk_add_f32 v[78:79], v[118:119], v[78:79]
	v_pk_fma_f32 v[118:119], v[90:91], s[30:31], v[208:209] neg_lo:[0,0,1] neg_hi:[0,0,1]
	v_pk_fma_f32 v[210:211], v[90:91], s[30:31], v[208:209]
	v_pk_mul_f32 v[114:115], v[94:95], s[44:45]
	s_mov_b32 s2, s45
	s_mov_b32 s3, s44
	v_mov_b32_e32 v119, v211
	v_pk_fma_f32 v[92:93], v[30:31], s[2:3], v[114:115] neg_lo:[0,0,1] neg_hi:[0,0,1]
	v_pk_fma_f32 v[146:147], v[30:31], s[2:3], v[114:115]
	v_pk_add_f32 v[78:79], v[118:119], v[78:79]
	v_mov_b32_e32 v118, v112
	v_mov_b32_e32 v119, v145
	v_pk_add_f32 v[118:119], v[76:77], v[118:119]
	v_mov_b32_e32 v93, v147
	v_pk_mul_f32 v[214:215], v[110:111], s[56:57]
	v_pk_add_f32 v[92:93], v[92:93], v[118:119]
	v_pk_fma_f32 v[118:119], v[80:81], s[30:31], v[214:215] neg_lo:[0,0,1] neg_hi:[0,0,1]
	v_pk_fma_f32 v[212:213], v[80:81], s[30:31], v[214:215]
	v_pk_mul_f32 v[218:219], v[108:109], s[66:67]
	v_mov_b32_e32 v119, v213
	v_pk_add_f32 v[92:93], v[118:119], v[92:93]
	v_pk_fma_f32 v[118:119], v[82:83], s[20:21], v[218:219] neg_lo:[0,0,1] neg_hi:[0,0,1]
	v_pk_fma_f32 v[216:217], v[82:83], s[20:21], v[218:219]
	v_pk_mul_f32 v[222:223], v[106:107], s[46:47]
	v_mov_b32_e32 v119, v217
	v_pk_add_f32 v[92:93], v[118:119], v[92:93]
	v_pk_fma_f32 v[118:119], v[84:85], s[10:11], v[222:223] neg_lo:[0,0,1] neg_hi:[0,0,1]
	v_pk_fma_f32 v[220:221], v[84:85], s[10:11], v[222:223]
	s_mov_b32 s58, 0x3f7ee86f
	s_mov_b32 s59, s55
	v_mov_b32_e32 v119, v221
	v_pk_mul_f32 v[224:225], v[104:105], s[58:59]
	s_mov_b32 s42, s55
	s_mov_b32 s43, s58
	v_pk_add_f32 v[92:93], v[118:119], v[92:93]
	v_pk_fma_f32 v[118:119], v[86:87], s[42:43], v[224:225] neg_lo:[0,0,1] neg_hi:[0,0,1]
	v_pk_fma_f32 v[226:227], v[86:87], s[42:43], v[224:225]
	s_mov_b32 s68, 0xbeb8f4ab
	s_mov_b32 s69, s49
	v_mov_b32_e32 v119, v227
	v_pk_mul_f32 v[228:229], v[102:103], s[68:69]
	s_mov_b32 s34, s49
	s_mov_b32 s35, s68
	;; [unrolled: 9-line block ×3, first 2 shown]
	v_pk_add_f32 v[92:93], v[118:119], v[92:93]
	v_pk_fma_f32 v[118:119], v[90:91], s[26:27], v[232:233] neg_lo:[0,0,1] neg_hi:[0,0,1]
	v_pk_fma_f32 v[234:235], v[90:91], s[26:27], v[232:233]
	s_nop 0
	v_mov_b32_e32 v119, v235
	v_pk_add_f32 v[92:93], v[118:119], v[92:93]
	s_barrier
	s_and_saveexec_b64 s[24:25], vcc
	s_cbranch_execz .LBB0_17
; %bb.16:
	v_pk_add_f32 v[32:33], v[32:33], v[76:77]
	v_pk_mul_f32 v[118:119], v[30:31], s[2:3]
	v_pk_add_f32 v[32:33], v[34:35], v[32:33]
	v_mov_b32_e32 v145, v113
	v_pk_add_f32 v[32:33], v[36:37], v[32:33]
	v_pk_add_f32 v[112:113], v[114:115], v[118:119] neg_lo:[0,1] neg_hi:[0,1]
	v_pk_add_f32 v[32:33], v[38:39], v[32:33]
	v_mov_b32_e32 v147, v113
	v_pk_add_f32 v[32:33], v[40:41], v[32:33]
	s_mov_b32 s36, s49
	v_pk_add_f32 v[32:33], v[42:43], v[32:33]
	v_pk_mul_f32 v[112:113], v[98:99], s[68:69] op_sel_hi:[1,0]
	v_pk_add_f32 v[32:33], v[48:49], v[32:33]
	s_mov_b32 s73, s57
	v_pk_add_f32 v[32:33], v[50:51], v[32:33]
	v_pk_mul_f32 v[40:41], v[108:109], s[54:55]
	v_pk_add_f32 v[32:33], v[44:45], v[32:33]
	s_mov_b32 s29, s51
	v_pk_add_f32 v[32:33], v[46:47], v[32:33]
	s_mov_b32 s40, s51
	;; [unrolled: 2-line block ×3, first 2 shown]
	v_pk_add_f32 v[32:33], v[54:55], v[32:33]
	v_pk_mul_f32 v[44:45], v[106:107], s[28:29]
	v_pk_add_f32 v[28:29], v[28:29], v[32:33]
	v_pk_mul_f32 v[48:49], v[104:105], s[62:63]
	;; [unrolled: 2-line block ×3, first 2 shown]
	v_pk_add_f32 v[24:25], v[24:25], v[28:29]
	v_pk_fma_f32 v[28:29], v[96:97], s[36:37], v[112:113] op_sel:[0,0,1] op_sel_hi:[1,0,0]
	v_pk_add_f32 v[24:25], v[26:27], v[24:25]
	v_pk_fma_f32 v[26:27], v[96:97], s[36:37], v[112:113] op_sel:[0,0,1] op_sel_hi:[1,0,0] neg_lo:[0,0,1] neg_hi:[0,0,1]
	s_mov_b32 s37, 0xbf2c7751
	s_mov_b32 s72, s37
	;; [unrolled: 1-line block ×3, first 2 shown]
	v_pk_mul_f32 v[32:33], v[94:95], s[72:73]
	v_accvgpr_write_b32 a3, v29
	v_mov_b32_e32 v29, v27
	v_pk_fma_f32 v[36:37], v[30:31], s[36:37], v[32:33]
	v_pk_fma_f32 v[34:35], v[30:31], s[36:37], v[32:33] neg_lo:[1,0,0] neg_hi:[1,0,0]
	v_pk_add_f32 v[28:29], v[76:77], v[28:29]
	v_mov_b32_e32 v34, v36
	v_accvgpr_write_b32 a5, v37
	v_pk_mul_f32 v[36:37], v[110:111], s[66:67]
	v_pk_add_f32 v[28:29], v[34:35], v[28:29]
	v_pk_fma_f32 v[38:39], v[80:81], s[20:21], v[36:37]
	v_pk_fma_f32 v[34:35], v[80:81], s[20:21], v[36:37] neg_lo:[1,0,0] neg_hi:[1,0,0]
	v_accvgpr_write_b32 a7, v39
	v_mov_b32_e32 v34, v38
	v_pk_add_f32 v[28:29], v[34:35], v[28:29]
	v_pk_fma_f32 v[38:39], v[82:83], s[14:15], v[40:41]
	v_pk_fma_f32 v[34:35], v[82:83], s[14:15], v[40:41] neg_lo:[1,0,0] neg_hi:[1,0,0]
	v_accvgpr_write_b32 a9, v39
	v_mov_b32_e32 v34, v38
	;; [unrolled: 5-line block ×4, first 2 shown]
	v_pk_add_f32 v[28:29], v[34:35], v[28:29]
	v_pk_fma_f32 v[38:39], v[88:89], s[16:17], v[52:53]
	v_pk_fma_f32 v[34:35], v[88:89], s[16:17], v[52:53] neg_lo:[1,0,0] neg_hi:[1,0,0]
	v_pk_mul_f32 v[74:75], v[100:101], s[46:47]
	v_mov_b32_e32 v34, v38
	v_accvgpr_write_b32 a15, v39
	v_pk_add_f32 v[28:29], v[34:35], v[28:29]
	v_pk_fma_f32 v[38:39], v[90:91], s[10:11], v[74:75]
	v_pk_fma_f32 v[34:35], v[90:91], s[10:11], v[74:75] neg_lo:[1,0,0] neg_hi:[1,0,0]
	v_lshl_add_u32 v253, v156, 3, v244
	v_mov_b32_e32 v34, v38
	v_pk_add_f32 v[28:29], v[34:35], v[28:29]
	s_mov_b32 s70, s37
	ds_write2_b64 v253, v[24:25], v[28:29] offset1:1
	s_mov_b32 s60, s57
	v_pk_mul_f32 v[24:25], v[98:99], s[70:71] op_sel_hi:[1,0]
	v_pk_mul_f32 v[118:119], v[94:95], s[54:55]
	v_pk_fma_f32 v[112:113], v[96:97], s[60:61], v[24:25] op_sel:[0,0,1] op_sel_hi:[1,0,0]
	v_pk_fma_f32 v[114:115], v[96:97], s[60:61], v[24:25] op_sel:[0,0,1] op_sel_hi:[1,0,0] neg_lo:[0,0,1] neg_hi:[0,0,1]
	v_mov_b32_e32 v24, v112
	v_mov_b32_e32 v25, v115
	v_pk_fma_f32 v[54:55], v[30:31], s[14:15], v[118:119]
	v_pk_fma_f32 v[28:29], v[30:31], s[14:15], v[118:119] neg_lo:[1,0,0] neg_hi:[1,0,0]
	v_pk_add_f32 v[24:25], v[76:77], v[24:25]
	v_mov_b32_e32 v28, v54
	v_pk_mul_f32 v[122:123], v[110:111], s[62:63]
	v_pk_add_f32 v[24:25], v[28:29], v[24:25]
	v_pk_fma_f32 v[50:51], v[80:81], s[26:27], v[122:123]
	v_pk_fma_f32 v[28:29], v[80:81], s[26:27], v[122:123] neg_lo:[1,0,0] neg_hi:[1,0,0]
	v_pk_mul_f32 v[126:127], v[108:109], s[46:47]
	v_mov_b32_e32 v28, v50
	v_pk_add_f32 v[24:25], v[28:29], v[24:25]
	v_pk_fma_f32 v[46:47], v[82:83], s[10:11], v[126:127]
	v_pk_fma_f32 v[28:29], v[82:83], s[10:11], v[126:127] neg_lo:[1,0,0] neg_hi:[1,0,0]
	v_pk_mul_f32 v[130:131], v[106:107], s[44:45]
	v_mov_b32_e32 v28, v46
	v_pk_add_f32 v[24:25], v[28:29], v[24:25]
	v_pk_fma_f32 v[42:43], v[84:85], s[2:3], v[130:131]
	v_pk_fma_f32 v[28:29], v[84:85], s[2:3], v[130:131] neg_lo:[1,0,0] neg_hi:[1,0,0]
	v_pk_mul_f32 v[134:135], v[104:105], s[50:51]
	v_accvgpr_write_b32 a17, v39
	v_mov_b32_e32 v28, v42
	v_pk_fma_f32 v[38:39], v[86:87], s[18:19], v[134:135]
	v_pk_fma_f32 v[138:139], v[86:87], s[18:19], v[134:135] neg_lo:[1,0,0] neg_hi:[1,0,0]
	s_mov_b32 s61, 0x3f65296c
	v_pk_add_f32 v[24:25], v[28:29], v[24:25]
	v_mov_b32_e32 v138, v38
	s_mov_b32 s70, s61
	s_mov_b32 s71, s67
	v_pk_add_f32 v[140:141], v[138:139], v[24:25]
	s_mov_b32 s60, s67
	v_pk_mul_f32 v[138:139], v[102:103], s[70:71]
	s_mov_b32 s44, s67
	v_pk_fma_f32 v[34:35], v[88:89], s[60:61], v[138:139]
	v_pk_fma_f32 v[142:143], v[88:89], s[60:61], v[138:139] neg_lo:[1,0,0] neg_hi:[1,0,0]
	v_pk_mul_f32 v[154:155], v[94:95], s[62:63]
	v_mov_b32_e32 v142, v34
	v_pk_add_f32 v[148:149], v[142:143], v[140:141]
	v_pk_mul_f32 v[142:143], v[100:101], s[48:49]
	v_mov_b32_e32 v27, v157
	v_pk_fma_f32 v[140:141], v[90:91], s[22:23], v[142:143]
	v_pk_fma_f32 v[150:151], v[90:91], s[22:23], v[142:143] neg_lo:[1,0,0] neg_hi:[1,0,0]
	v_pk_fma_f32 v[158:159], v[30:31], s[26:27], v[154:155] neg_lo:[1,0,0] neg_hi:[1,0,0]
	v_mov_b32_e32 v150, v140
	v_pk_add_f32 v[24:25], v[150:151], v[148:149]
	v_pk_mul_f32 v[150:151], v[98:99], s[66:67] op_sel_hi:[1,0]
	s_mov_b32 s67, 0x3e3c28d5
	v_pk_fma_f32 v[148:149], v[96:97], s[44:45], v[150:151] op_sel:[0,0,1] op_sel_hi:[1,0,0]
	v_pk_fma_f32 v[150:151], v[96:97], s[44:45], v[150:151] op_sel:[0,0,1] op_sel_hi:[1,0,0] neg_lo:[0,0,1] neg_hi:[0,0,1]
	v_mov_b32_e32 v152, v148
	v_mov_b32_e32 v153, v151
	v_pk_add_f32 v[156:157], v[76:77], v[152:153]
	v_pk_fma_f32 v[152:153], v[30:31], s[26:27], v[154:155]
	s_mov_b32 s74, s67
	v_mov_b32_e32 v158, v152
	s_mov_b32 s75, s47
	v_pk_add_f32 v[160:161], v[158:159], v[156:157]
	s_mov_b32 s66, s47
	v_pk_mul_f32 v[158:159], v[110:111], s[74:75]
	v_pk_mul_f32 v[60:61], v[90:91], s[26:27]
	v_pk_fma_f32 v[156:157], v[80:81], s[66:67], v[158:159]
	v_pk_fma_f32 v[162:163], v[80:81], s[66:67], v[158:159] neg_lo:[1,0,0] neg_hi:[1,0,0]
	v_accvgpr_write_b32 a18, v60
	v_mov_b32_e32 v162, v156
	v_pk_add_f32 v[164:165], v[162:163], v[160:161]
	v_pk_mul_f32 v[162:163], v[108:109], s[50:51]
	v_accvgpr_write_b32 a19, v61
	v_pk_fma_f32 v[160:161], v[82:83], s[18:19], v[162:163]
	v_pk_fma_f32 v[166:167], v[82:83], s[18:19], v[162:163] neg_lo:[1,0,0] neg_hi:[1,0,0]
	v_pk_mul_f32 v[246:247], v[30:31], s[10:11]
	v_mov_b32_e32 v166, v160
	v_pk_add_f32 v[168:169], v[166:167], v[164:165]
	v_pk_mul_f32 v[166:167], v[106:107], s[56:57]
	v_pk_mul_f32 v[248:249], v[80:81], s[18:19]
	v_pk_fma_f32 v[164:165], v[84:85], s[30:31], v[166:167]
	v_pk_fma_f32 v[170:171], v[84:85], s[30:31], v[166:167] neg_lo:[1,0,0] neg_hi:[1,0,0]
	v_pk_mul_f32 v[250:251], v[82:83], s[22:23]
	v_mov_b32_e32 v170, v164
	v_pk_add_f32 v[172:173], v[170:171], v[168:169]
	v_pk_mul_f32 v[170:171], v[104:105], s[68:69]
	v_pk_mul_f32 v[254:255], v[116:117], s[14:15]
	v_pk_fma_f32 v[168:169], v[86:87], s[34:35], v[170:171]
	v_pk_fma_f32 v[174:175], v[86:87], s[34:35], v[170:171] neg_lo:[1,0,0] neg_hi:[1,0,0]
	v_pk_mul_f32 v[116:117], v[84:85], s[20:21]
	v_mov_b32_e32 v174, v168
	v_pk_add_f32 v[178:179], v[174:175], v[172:173]
	v_pk_mul_f32 v[174:175], v[102:103], s[54:55]
	v_pk_mul_f32 v[120:121], v[86:87], s[16:17]
	v_pk_fma_f32 v[172:173], v[88:89], s[14:15], v[174:175]
	v_pk_fma_f32 v[180:181], v[88:89], s[14:15], v[174:175] neg_lo:[1,0,0] neg_hi:[1,0,0]
	v_pk_mul_f32 v[124:125], v[88:89], s[38:39]
	v_mov_b32_e32 v180, v172
	v_pk_add_f32 v[60:61], v[180:181], v[178:179]
	v_pk_mul_f32 v[180:181], v[100:101], s[52:53]
	v_pk_mul_f32 v[132:133], v[80:81], s[30:31]
	v_pk_fma_f32 v[28:29], v[90:91], s[16:17], v[180:181]
	v_pk_fma_f32 v[178:179], v[90:91], s[16:17], v[180:181] neg_lo:[1,0,0] neg_hi:[1,0,0]
	v_pk_mul_f32 v[128:129], v[90:91], s[30:31]
	v_mov_b32_e32 v178, v28
	v_pk_add_f32 v[60:61], v[178:179], v[60:61]
	ds_write2_b64 v253, v[24:25], v[60:61] offset0:2 offset1:3
	v_pk_add_f32 v[60:61], v[184:185], v[246:247] neg_lo:[0,1] neg_hi:[0,1]
	v_pk_mul_f32 v[136:137], v[82:83], s[20:21]
	v_mov_b32_e32 v187, v61
	v_pk_add_f32 v[60:61], v[188:189], v[248:249] neg_lo:[0,1] neg_hi:[0,1]
	v_pk_add_f32 v[24:25], v[176:177], v[254:255] neg_lo:[0,1] neg_hi:[0,1]
	v_mov_b32_e32 v191, v61
	v_pk_add_f32 v[60:61], v[192:193], v[250:251] neg_lo:[0,1] neg_hi:[0,1]
	v_mov_b32_e32 v221, v242
	v_mov_b32_e32 v195, v61
	v_pk_add_f32 v[60:61], v[196:197], v[116:117] neg_lo:[0,1] neg_hi:[0,1]
	v_pk_add_f32 v[116:117], v[214:215], v[132:133] neg_lo:[0,1] neg_hi:[0,1]
	v_mov_b32_e32 v199, v61
	v_pk_add_f32 v[60:61], v[200:201], v[120:121] neg_lo:[0,1] neg_hi:[0,1]
	v_mov_b32_e32 v227, v243
	v_mov_b32_e32 v203, v61
	v_pk_add_f32 v[60:61], v[204:205], v[124:125] neg_lo:[0,1] neg_hi:[0,1]
	v_pk_mul_f32 v[242:243], v[84:85], s[10:11]
	v_mov_b32_e32 v183, v25
	v_mov_b32_e32 v207, v61
	v_pk_add_f32 v[60:61], v[208:209], v[128:129] neg_lo:[0,1] neg_hi:[0,1]
	v_mov_b32_e32 v213, v117
	v_pk_add_f32 v[116:117], v[218:219], v[136:137] neg_lo:[0,1] neg_hi:[0,1]
	v_accvgpr_write_b32 a2, v241
	v_pk_mul_f32 v[240:241], v[86:87], s[42:43]
	v_pk_add_f32 v[24:25], v[76:77], v[182:183]
	v_mov_b32_e32 v211, v61
	v_pk_add_f32 v[60:61], v[76:77], v[144:145]
	v_mov_b32_e32 v217, v117
	v_pk_add_f32 v[116:117], v[222:223], v[242:243] neg_lo:[0,1] neg_hi:[0,1]
	v_accvgpr_write_b32 a0, v238
	v_accvgpr_write_b32 a1, v239
	v_pk_mul_f32 v[238:239], v[88:89], s[34:35]
	v_pk_add_f32 v[24:25], v[186:187], v[24:25]
	v_pk_add_f32 v[60:61], v[146:147], v[60:61]
	v_mov_b32_e32 v242, v221
	v_mov_b32_e32 v221, v117
	v_pk_add_f32 v[116:117], v[224:225], v[240:241] neg_lo:[0,1] neg_hi:[0,1]
	v_pk_add_f32 v[24:25], v[190:191], v[24:25]
	v_pk_add_f32 v[60:61], v[212:213], v[60:61]
	v_mov_b32_e32 v243, v227
	v_mov_b32_e32 v227, v117
	v_pk_add_f32 v[116:117], v[228:229], v[238:239] neg_lo:[0,1] neg_hi:[0,1]
	v_pk_add_f32 v[24:25], v[194:195], v[24:25]
	v_pk_add_f32 v[60:61], v[216:217], v[60:61]
	v_mov_b32_e32 v231, v117
	v_accvgpr_read_b32 v117, a19
	v_pk_add_f32 v[24:25], v[198:199], v[24:25]
	v_pk_add_f32 v[60:61], v[220:221], v[60:61]
	v_accvgpr_read_b32 v116, a18
	v_pk_add_f32 v[24:25], v[202:203], v[24:25]
	v_pk_add_f32 v[60:61], v[226:227], v[60:61]
	v_pk_add_f32 v[116:117], v[232:233], v[116:117] neg_lo:[0,1] neg_hi:[0,1]
	v_pk_add_f32 v[24:25], v[206:207], v[24:25]
	v_pk_add_f32 v[60:61], v[230:231], v[60:61]
	v_mov_b32_e32 v235, v117
	v_pk_add_f32 v[24:25], v[210:211], v[24:25]
	v_pk_add_f32 v[60:61], v[234:235], v[60:61]
	ds_write2_b64 v253, v[24:25], v[60:61] offset0:4 offset1:5
	s_mov_b32 s44, s65
	v_pk_mul_f32 v[24:25], v[98:99], s[62:63] op_sel_hi:[1,0]
	v_pk_mul_f32 v[120:121], v[94:95], s[50:51]
	v_pk_fma_f32 v[60:61], v[96:97], s[44:45], v[24:25] op_sel:[0,0,1] op_sel_hi:[1,0,0]
	v_pk_fma_f32 v[24:25], v[96:97], s[44:45], v[24:25] op_sel:[0,0,1] op_sel_hi:[1,0,0] neg_lo:[0,0,1] neg_hi:[0,0,1]
	v_mov_b32_e32 v116, v60
	v_mov_b32_e32 v117, v25
	v_pk_fma_f32 v[124:125], v[30:31], s[18:19], v[120:121]
	v_pk_fma_f32 v[128:129], v[30:31], s[18:19], v[120:121] neg_lo:[1,0,0] neg_hi:[1,0,0]
	v_pk_add_f32 v[116:117], v[76:77], v[116:117]
	v_mov_b32_e32 v128, v124
	v_pk_add_f32 v[116:117], v[128:129], v[116:117]
	v_pk_mul_f32 v[128:129], v[110:111], s[68:69]
	s_mov_b32 s44, s45
	v_pk_fma_f32 v[132:133], v[80:81], s[34:35], v[128:129]
	v_pk_fma_f32 v[136:137], v[80:81], s[34:35], v[128:129] neg_lo:[1,0,0] neg_hi:[1,0,0]
	v_pk_mul_f32 v[194:195], v[94:95], s[70:71]
	v_mov_b32_e32 v136, v132
	v_pk_add_f32 v[116:117], v[136:137], v[116:117]
	v_pk_mul_f32 v[136:137], v[108:109], s[52:53]
	v_pk_fma_f32 v[212:213], v[30:31], s[60:61], v[194:195]
	v_pk_fma_f32 v[144:145], v[82:83], s[16:17], v[136:137]
	v_pk_fma_f32 v[146:147], v[82:83], s[16:17], v[136:137] neg_lo:[1,0,0] neg_hi:[1,0,0]
	v_pk_fma_f32 v[214:215], v[30:31], s[60:61], v[194:195] neg_lo:[1,0,0] neg_hi:[1,0,0]
	v_mov_b32_e32 v146, v144
	v_pk_add_f32 v[116:117], v[146:147], v[116:117]
	v_pk_mul_f32 v[146:147], v[106:107], s[58:59]
	v_pk_mul_f32 v[196:197], v[110:111], s[54:55]
	v_pk_fma_f32 v[176:177], v[84:85], s[42:43], v[146:147]
	v_pk_fma_f32 v[178:179], v[84:85], s[42:43], v[146:147] neg_lo:[1,0,0] neg_hi:[1,0,0]
	v_mov_b32_e32 v214, v212
	v_mov_b32_e32 v178, v176
	v_pk_add_f32 v[116:117], v[178:179], v[116:117]
	v_pk_mul_f32 v[178:179], v[104:105], s[72:73]
	v_pk_fma_f32 v[216:217], v[80:81], s[14:15], v[196:197] neg_lo:[1,0,0] neg_hi:[1,0,0]
	v_pk_fma_f32 v[182:183], v[86:87], s[36:37], v[178:179]
	v_pk_fma_f32 v[184:185], v[86:87], s[36:37], v[178:179] neg_lo:[1,0,0] neg_hi:[1,0,0]
	v_pk_mul_f32 v[198:199], v[108:109], s[64:65]
	v_mov_b32_e32 v184, v182
	v_pk_add_f32 v[116:117], v[184:185], v[116:117]
	v_pk_mul_f32 v[184:185], v[102:103], s[46:47]
	v_pk_fma_f32 v[218:219], v[82:83], s[38:39], v[198:199] neg_lo:[1,0,0] neg_hi:[1,0,0]
	v_pk_fma_f32 v[186:187], v[88:89], s[10:11], v[184:185]
	v_pk_fma_f32 v[188:189], v[88:89], s[10:11], v[184:185] neg_lo:[1,0,0] neg_hi:[1,0,0]
	v_pk_mul_f32 v[200:201], v[106:107], s[68:69]
	;; [unrolled: 7-line block ×3, first 2 shown]
	v_mov_b32_e32 v192, v190
	v_pk_add_f32 v[116:117], v[192:193], v[116:117]
	v_pk_mul_f32 v[192:193], v[98:99], s[52:53] op_sel_hi:[1,0]
	v_pk_fma_f32 v[222:223], v[86:87], s[10:11], v[202:203] neg_lo:[1,0,0] neg_hi:[1,0,0]
	v_pk_fma_f32 v[208:209], v[96:97], s[44:45], v[192:193] op_sel:[0,0,1] op_sel_hi:[1,0,0]
	v_pk_fma_f32 v[192:193], v[96:97], s[44:45], v[192:193] op_sel:[0,0,1] op_sel_hi:[1,0,0] neg_lo:[0,0,1] neg_hi:[0,0,1]
	v_mov_b32_e32 v210, v208
	v_mov_b32_e32 v211, v193
	v_pk_add_f32 v[210:211], v[76:77], v[210:211]
	v_pk_mul_f32 v[204:205], v[102:103], s[56:57]
	v_pk_add_f32 v[210:211], v[214:215], v[210:211]
	v_pk_fma_f32 v[214:215], v[80:81], s[14:15], v[196:197]
	v_pk_fma_f32 v[224:225], v[88:89], s[30:31], v[204:205] neg_lo:[1,0,0] neg_hi:[1,0,0]
	v_mov_b32_e32 v216, v214
	v_pk_add_f32 v[210:211], v[216:217], v[210:211]
	v_pk_fma_f32 v[216:217], v[82:83], s[38:39], v[198:199]
	v_pk_mul_f32 v[206:207], v[100:101], s[28:29]
	v_mov_b32_e32 v218, v216
	v_pk_add_f32 v[210:211], v[218:219], v[210:211]
	v_pk_fma_f32 v[218:219], v[84:85], s[34:35], v[200:201]
	v_pk_fma_f32 v[226:227], v[90:91], s[40:41], v[206:207] neg_lo:[1,0,0] neg_hi:[1,0,0]
	v_mov_b32_e32 v220, v218
	v_pk_add_f32 v[210:211], v[220:221], v[210:211]
	v_pk_fma_f32 v[220:221], v[86:87], s[10:11], v[202:203]
	s_mov_b32 s44, s47
	v_mov_b32_e32 v222, v220
	v_pk_add_f32 v[210:211], v[222:223], v[210:211]
	v_pk_fma_f32 v[222:223], v[88:89], s[30:31], v[204:205]
	v_pk_mul_f32 v[98:99], v[98:99], s[46:47] op_sel_hi:[1,0]
	v_mov_b32_e32 v224, v222
	v_pk_add_f32 v[210:211], v[224:225], v[210:211]
	v_pk_fma_f32 v[224:225], v[90:91], s[40:41], v[206:207]
	v_pk_mul_f32 v[94:95], v[94:95], s[48:49]
	v_mov_b32_e32 v226, v224
	v_pk_add_f32 v[210:211], v[226:227], v[210:211]
	ds_write2_b64 v253, v[116:117], v[210:211] offset0:6 offset1:7
	v_pk_fma_f32 v[116:117], v[96:97], s[44:45], v[98:99] op_sel:[0,0,1] op_sel_hi:[1,0,0]
	v_pk_fma_f32 v[96:97], v[96:97], s[44:45], v[98:99] op_sel:[0,0,1] op_sel_hi:[1,0,0] neg_lo:[0,0,1] neg_hi:[0,0,1]
	v_mov_b32_e32 v98, v116
	v_mov_b32_e32 v99, v97
	v_pk_fma_f32 v[210:211], v[30:31], s[22:23], v[94:95]
	v_pk_fma_f32 v[226:227], v[30:31], s[22:23], v[94:95] neg_lo:[1,0,0] neg_hi:[1,0,0]
	v_mov_b32_e32 v97, v117
	v_pk_fma_f32 v[94:95], v[30:31], s[22:23], v[94:95] neg_lo:[0,0,1] neg_hi:[0,0,1]
	v_pk_add_f32 v[98:99], v[76:77], v[98:99]
	v_mov_b32_e32 v226, v210
	v_pk_mul_f32 v[110:111], v[110:111], s[52:53]
	v_pk_add_f32 v[96:97], v[76:77], v[96:97]
	v_mov_b32_e32 v95, v211
	v_pk_add_f32 v[98:99], v[226:227], v[98:99]
	v_pk_fma_f32 v[226:227], v[80:81], s[16:17], v[110:111]
	v_pk_fma_f32 v[228:229], v[80:81], s[16:17], v[110:111] neg_lo:[1,0,0] neg_hi:[1,0,0]
	v_pk_add_f32 v[94:95], v[94:95], v[96:97]
	v_pk_fma_f32 v[96:97], v[80:81], s[16:17], v[110:111] neg_lo:[0,0,1] neg_hi:[0,0,1]
	v_mov_b32_e32 v228, v226
	v_pk_mul_f32 v[108:109], v[108:109], s[56:57]
	v_mov_b32_e32 v97, v227
	v_pk_add_f32 v[98:99], v[228:229], v[98:99]
	v_pk_fma_f32 v[228:229], v[82:83], s[30:31], v[108:109]
	v_pk_fma_f32 v[230:231], v[82:83], s[30:31], v[108:109] neg_lo:[1,0,0] neg_hi:[1,0,0]
	v_pk_add_f32 v[94:95], v[96:97], v[94:95]
	v_pk_fma_f32 v[96:97], v[82:83], s[30:31], v[108:109] neg_lo:[0,0,1] neg_hi:[0,0,1]
	v_mov_b32_e32 v230, v228
	v_pk_mul_f32 v[106:107], v[106:107], s[62:63]
	v_mov_b32_e32 v97, v229
	v_pk_add_f32 v[98:99], v[230:231], v[98:99]
	v_pk_fma_f32 v[230:231], v[84:85], s[26:27], v[106:107]
	v_pk_fma_f32 v[232:233], v[84:85], s[26:27], v[106:107] neg_lo:[1,0,0] neg_hi:[1,0,0]
	v_pk_add_f32 v[94:95], v[96:97], v[94:95]
	v_pk_fma_f32 v[96:97], v[84:85], s[26:27], v[106:107] neg_lo:[0,0,1] neg_hi:[0,0,1]
	v_mov_b32_e32 v232, v230
	v_pk_mul_f32 v[104:105], v[104:105], s[70:71]
	v_mov_b32_e32 v97, v231
	v_pk_add_f32 v[98:99], v[232:233], v[98:99]
	v_pk_fma_f32 v[232:233], v[86:87], s[60:61], v[104:105]
	v_pk_fma_f32 v[234:235], v[86:87], s[60:61], v[104:105] neg_lo:[1,0,0] neg_hi:[1,0,0]
	v_pk_add_f32 v[94:95], v[96:97], v[94:95]
	v_pk_fma_f32 v[96:97], v[86:87], s[60:61], v[104:105] neg_lo:[0,0,1] neg_hi:[0,0,1]
	v_mov_b32_e32 v234, v232
	v_pk_mul_f32 v[102:103], v[102:103], s[28:29]
	v_mov_b32_e32 v97, v233
	v_pk_add_f32 v[98:99], v[234:235], v[98:99]
	v_pk_fma_f32 v[234:235], v[88:89], s[40:41], v[102:103]
	v_pk_fma_f32 v[238:239], v[88:89], s[40:41], v[102:103] neg_lo:[1,0,0] neg_hi:[1,0,0]
	v_pk_add_f32 v[94:95], v[96:97], v[94:95]
	v_pk_fma_f32 v[96:97], v[88:89], s[40:41], v[102:103] neg_lo:[0,0,1] neg_hi:[0,0,1]
	v_mov_b32_e32 v238, v234
	v_pk_mul_f32 v[100:101], v[100:101], s[58:59]
	v_mov_b32_e32 v97, v235
	v_pk_add_f32 v[98:99], v[238:239], v[98:99]
	v_pk_fma_f32 v[238:239], v[90:91], s[42:43], v[100:101]
	v_pk_fma_f32 v[240:241], v[90:91], s[42:43], v[100:101] neg_lo:[1,0,0] neg_hi:[1,0,0]
	v_pk_add_f32 v[94:95], v[96:97], v[94:95]
	v_pk_fma_f32 v[96:97], v[90:91], s[42:43], v[100:101] neg_lo:[0,0,1] neg_hi:[0,0,1]
	v_mov_b32_e32 v240, v238
	v_mov_b32_e32 v97, v239
	v_pk_add_f32 v[98:99], v[240:241], v[98:99]
	v_pk_add_f32 v[94:95], v[96:97], v[94:95]
	v_mov_b32_e32 v193, v209
	v_pk_fma_f32 v[96:97], v[30:31], s[60:61], v[194:195] neg_lo:[0,0,1] neg_hi:[0,0,1]
	v_mov_b32_e32 v25, v61
	v_pk_fma_f32 v[60:61], v[30:31], s[18:19], v[120:121] neg_lo:[0,0,1] neg_hi:[0,0,1]
	ds_write2_b64 v253, v[98:99], v[94:95] offset0:8 offset1:9
	v_pk_add_f32 v[94:95], v[76:77], v[192:193]
	v_mov_b32_e32 v97, v213
	v_pk_add_f32 v[24:25], v[76:77], v[24:25]
	v_mov_b32_e32 v61, v125
	v_pk_add_f32 v[94:95], v[96:97], v[94:95]
	v_pk_fma_f32 v[96:97], v[80:81], s[14:15], v[196:197] neg_lo:[0,0,1] neg_hi:[0,0,1]
	v_pk_add_f32 v[24:25], v[60:61], v[24:25]
	v_pk_fma_f32 v[60:61], v[80:81], s[34:35], v[128:129] neg_lo:[0,0,1] neg_hi:[0,0,1]
	v_mov_b32_e32 v97, v215
	v_mov_b32_e32 v61, v133
	v_pk_add_f32 v[94:95], v[96:97], v[94:95]
	v_pk_fma_f32 v[96:97], v[82:83], s[38:39], v[198:199] neg_lo:[0,0,1] neg_hi:[0,0,1]
	v_pk_add_f32 v[24:25], v[60:61], v[24:25]
	v_pk_fma_f32 v[60:61], v[82:83], s[16:17], v[136:137] neg_lo:[0,0,1] neg_hi:[0,0,1]
	v_mov_b32_e32 v97, v217
	;; [unrolled: 6-line block ×6, first 2 shown]
	v_mov_b32_e32 v61, v191
	v_pk_add_f32 v[94:95], v[96:97], v[94:95]
	v_pk_add_f32 v[24:25], v[60:61], v[24:25]
	v_mov_b32_e32 v151, v149
	v_pk_fma_f32 v[60:61], v[30:31], s[26:27], v[154:155] neg_lo:[0,0,1] neg_hi:[0,0,1]
	ds_write2_b64 v253, v[94:95], v[24:25] offset0:10 offset1:11
	ds_write2_b64 v253, v[92:93], v[78:79] offset0:12 offset1:13
	v_pk_add_f32 v[24:25], v[76:77], v[150:151]
	v_mov_b32_e32 v61, v153
	v_pk_add_f32 v[24:25], v[60:61], v[24:25]
	v_pk_fma_f32 v[60:61], v[80:81], s[66:67], v[158:159] neg_lo:[0,0,1] neg_hi:[0,0,1]
	v_mov_b32_e32 v115, v113
	v_mov_b32_e32 v61, v157
	v_pk_add_f32 v[24:25], v[60:61], v[24:25]
	v_pk_fma_f32 v[60:61], v[82:83], s[18:19], v[162:163] neg_lo:[0,0,1] neg_hi:[0,0,1]
	v_mov_b32_e32 v157, v27
	v_mov_b32_e32 v61, v161
	v_pk_add_f32 v[24:25], v[60:61], v[24:25]
	v_pk_fma_f32 v[60:61], v[84:85], s[30:31], v[166:167] neg_lo:[0,0,1] neg_hi:[0,0,1]
	v_accvgpr_read_b32 v27, a3
	v_mov_b32_e32 v61, v165
	v_pk_add_f32 v[24:25], v[60:61], v[24:25]
	v_pk_fma_f32 v[60:61], v[86:87], s[34:35], v[170:171] neg_lo:[0,0,1] neg_hi:[0,0,1]
	v_accvgpr_read_b32 v238, a0
	;; [unrolled: 4-line block ×4, first 2 shown]
	v_mov_b32_e32 v61, v29
	v_pk_add_f32 v[24:25], v[60:61], v[24:25]
	v_pk_fma_f32 v[60:61], v[30:31], s[14:15], v[118:119] neg_lo:[0,0,1] neg_hi:[0,0,1]
	v_pk_add_f32 v[28:29], v[76:77], v[114:115]
	v_mov_b32_e32 v61, v55
	v_pk_fma_f32 v[54:55], v[80:81], s[26:27], v[122:123] neg_lo:[0,0,1] neg_hi:[0,0,1]
	v_pk_add_f32 v[28:29], v[60:61], v[28:29]
	v_mov_b32_e32 v55, v51
	;; [unrolled: 3-line block ×7, first 2 shown]
	v_pk_add_f32 v[28:29], v[34:35], v[28:29]
	ds_write2_b64 v253, v[24:25], v[28:29] offset0:14 offset1:15
	v_pk_add_f32 v[24:25], v[76:77], v[26:27]
	v_pk_fma_f32 v[26:27], v[30:31], s[36:37], v[32:33] neg_lo:[0,0,1] neg_hi:[0,0,1]
	s_nop 0
	v_accvgpr_read_b32 v27, a5
	v_pk_add_f32 v[24:25], v[26:27], v[24:25]
	v_pk_fma_f32 v[26:27], v[80:81], s[20:21], v[36:37] neg_lo:[0,0,1] neg_hi:[0,0,1]
	s_nop 0
	v_accvgpr_read_b32 v27, a7
	;; [unrolled: 4-line block ×7, first 2 shown]
	v_pk_add_f32 v[24:25], v[26:27], v[24:25]
	ds_write_b64 v253, v[24:25] offset:128
.LBB0_17:
	s_or_b64 exec, exec, s[24:25]
	v_add_u32_e32 v28, 0x800, v245
	s_waitcnt lgkmcnt(0)
	s_barrier
	ds_read2_b64 v[40:43], v245 offset1:34
	ds_read2_b64 v[44:47], v245 offset0:221 offset1:255
	ds_read2_b64 v[32:35], v245 offset0:68 offset1:102
	;; [unrolled: 1-line block ×5, first 2 shown]
	v_mov_b32_e32 v76, v66
	v_mov_b32_e32 v77, v66
	;; [unrolled: 1-line block ×18, first 2 shown]
	s_and_saveexec_b64 s[2:3], s[0:1]
	s_cbranch_execz .LBB0_19
; %bb.18:
	ds_read_b64 v[92:93], v245 offset:1632
	ds_read_b64 v[78:79], v245 offset:3400
.LBB0_19:
	s_or_b64 exec, exec, s[2:3]
	s_waitcnt lgkmcnt(4)
	v_pk_mul_f32 v[60:61], v[66:67], v[44:45]
	s_waitcnt lgkmcnt(2)
	v_pk_mul_f32 v[66:67], v[68:69], v[38:39]
	;; [unrolled: 2-line block ×3, first 2 shown]
	v_pk_mul_f32 v[70:71], v[72:73], v[30:31]
	v_pk_fma_f32 v[72:73], v[76:77], v[44:45], v[60:61] op_sel:[0,0,1] op_sel_hi:[1,1,0]
	v_pk_fma_f32 v[44:45], v[76:77], v[44:45], v[60:61] op_sel:[0,0,1] op_sel_hi:[1,1,0] neg_lo:[0,0,1] neg_hi:[0,0,1]
	v_pk_mul_f32 v[64:65], v[64:65], v[46:47]
	v_mov_b32_e32 v73, v45
	v_pk_add_f32 v[44:45], v[40:41], v[72:73] neg_lo:[0,1] neg_hi:[0,1]
	s_nop 0
	v_pk_fma_f32 v[40:41], v[40:41], 2.0, v[44:45] op_sel_hi:[1,0,1] neg_lo:[0,0,1] neg_hi:[0,0,1]
	s_barrier
	ds_write2_b64 v239, v[40:41], v[44:45] offset1:17
	v_pk_fma_f32 v[40:41], v[54:55], v[46:47], v[64:65] op_sel:[0,0,1] op_sel_hi:[1,1,0]
	v_pk_fma_f32 v[44:45], v[54:55], v[46:47], v[64:65] op_sel:[0,0,1] op_sel_hi:[1,1,0] neg_lo:[0,0,1] neg_hi:[0,0,1]
	v_pk_mul_f32 v[62:63], v[62:63], v[36:37]
	v_mov_b32_e32 v41, v45
	v_pk_add_f32 v[40:41], v[42:43], v[40:41] neg_lo:[0,1] neg_hi:[0,1]
	s_nop 0
	v_pk_fma_f32 v[42:43], v[42:43], 2.0, v[40:41] op_sel_hi:[1,0,1] neg_lo:[0,0,1] neg_hi:[0,0,1]
	ds_write2_b64 v241, v[42:43], v[40:41] offset1:17
	v_pk_fma_f32 v[40:41], v[52:53], v[36:37], v[62:63] op_sel:[0,0,1] op_sel_hi:[1,1,0]
	v_pk_fma_f32 v[36:37], v[52:53], v[36:37], v[62:63] op_sel:[0,0,1] op_sel_hi:[1,1,0] neg_lo:[0,0,1] neg_hi:[0,0,1]
	s_nop 0
	v_mov_b32_e32 v41, v37
	v_pk_add_f32 v[36:37], v[32:33], v[40:41] neg_lo:[0,1] neg_hi:[0,1]
	s_nop 0
	v_pk_fma_f32 v[32:33], v[32:33], 2.0, v[36:37] op_sel_hi:[1,0,1] neg_lo:[0,0,1] neg_hi:[0,0,1]
	ds_write2_b64 v238, v[32:33], v[36:37] offset1:17
	v_pk_fma_f32 v[32:33], v[50:51], v[38:39], v[66:67] op_sel:[0,0,1] op_sel_hi:[1,1,0]
	v_pk_fma_f32 v[36:37], v[50:51], v[38:39], v[66:67] op_sel:[0,0,1] op_sel_hi:[1,1,0] neg_lo:[0,0,1] neg_hi:[0,0,1]
	s_nop 0
	;; [unrolled: 8-line block ×4, first 2 shown]
	v_mov_b32_e32 v25, v29
	v_pk_add_f32 v[24:25], v[26:27], v[24:25] neg_lo:[0,1] neg_hi:[0,1]
	s_nop 0
	v_pk_fma_f32 v[26:27], v[26:27], 2.0, v[24:25] op_sel_hi:[1,0,1] neg_lo:[0,0,1] neg_hi:[0,0,1]
	ds_write2_b64 v57, v[26:27], v[24:25] offset1:17
	s_and_saveexec_b64 s[2:3], s[0:1]
	s_cbranch_execz .LBB0_21
; %bb.20:
	v_pk_mul_f32 v[24:25], v[236:237], v[78:79] op_sel:[0,1]
	v_and_b32_e32 v26, 0xff, v157
	v_lshl_add_u32 v28, v26, 3, v244
	v_pk_fma_f32 v[26:27], v[236:237], v[78:79], v[24:25] op_sel:[0,0,1] op_sel_hi:[1,1,0]
	v_pk_fma_f32 v[24:25], v[236:237], v[78:79], v[24:25] op_sel:[0,0,1] op_sel_hi:[1,0,0] neg_lo:[1,0,0] neg_hi:[1,0,0]
	v_add_u32_e32 v28, 0x800, v28
	v_mov_b32_e32 v27, v25
	v_pk_add_f32 v[24:25], v[92:93], v[26:27] neg_lo:[0,1] neg_hi:[0,1]
	s_nop 0
	v_pk_fma_f32 v[26:27], v[92:93], 2.0, v[24:25] op_sel_hi:[1,0,1] neg_lo:[0,0,1] neg_hi:[0,0,1]
	ds_write2_b64 v28, v[26:27], v[24:25] offset0:152 offset1:169
.LBB0_21:
	s_or_b64 exec, exec, s[2:3]
	s_waitcnt lgkmcnt(0)
	s_barrier
	ds_read2_b64 v[24:27], v245 offset1:34
	ds_read2_b64 v[28:31], v245 offset0:136 offset1:170
	ds_read2_b64 v[32:35], v245 offset0:204 offset1:238
	v_add_u32_e32 v40, 0x800, v245
	ds_read2_b64 v[36:39], v40 offset0:16 offset1:50
	ds_read2_b64 v[40:43], v40 offset0:84 offset1:118
	ds_read_b64 v[44:45], v245 offset:3264
	s_mov_b32 s2, 0xbeedf032
	s_waitcnt lgkmcnt(4)
	v_pk_mul_f32 v[46:47], v[2:3], v[28:29] op_sel:[1,0]
	s_mov_b32 s0, 0x3f62ad3f
	v_pk_fma_f32 v[48:49], v[2:3], v[28:29], v[46:47] op_sel:[0,0,1] op_sel_hi:[1,1,0]
	v_pk_fma_f32 v[2:3], v[2:3], v[28:29], v[46:47] op_sel:[0,0,1] op_sel_hi:[0,1,0] neg_lo:[0,0,1] neg_hi:[0,0,1]
	v_mov_b32_e32 v49, v3
	v_pk_mul_f32 v[2:3], v[12:13], v[30:31] op_sel:[1,0]
	s_mov_b32 s20, 0xbf52af12
	v_pk_fma_f32 v[28:29], v[12:13], v[30:31], v[2:3] op_sel:[0,0,1] op_sel_hi:[1,1,0]
	v_pk_fma_f32 v[2:3], v[12:13], v[30:31], v[2:3] op_sel:[0,0,1] op_sel_hi:[0,1,0] neg_lo:[0,0,1] neg_hi:[0,0,1]
	v_mov_b32_e32 v29, v3
	s_waitcnt lgkmcnt(3)
	v_pk_mul_f32 v[2:3], v[14:15], v[32:33] op_sel:[1,0]
	s_mov_b32 s30, 0xbf7e222b
	v_pk_fma_f32 v[30:31], v[14:15], v[32:33], v[2:3] op_sel:[0,0,1] op_sel_hi:[1,1,0]
	v_pk_fma_f32 v[2:3], v[14:15], v[32:33], v[2:3] op_sel:[0,0,1] op_sel_hi:[0,1,0] neg_lo:[0,0,1] neg_hi:[0,0,1]
	v_mov_b32_e32 v31, v3
	v_pk_mul_f32 v[2:3], v[8:9], v[34:35] op_sel:[1,0]
	s_mov_b32 s10, 0x3df6dbef
	v_pk_fma_f32 v[32:33], v[8:9], v[34:35], v[2:3] op_sel:[0,0,1] op_sel_hi:[1,1,0]
	v_pk_fma_f32 v[2:3], v[8:9], v[34:35], v[2:3] op_sel:[0,0,1] op_sel_hi:[0,1,0] neg_lo:[0,0,1] neg_hi:[0,0,1]
	v_mov_b32_e32 v33, v3
	s_waitcnt lgkmcnt(2)
	v_pk_mul_f32 v[2:3], v[10:11], v[36:37] op_sel:[1,0]
	s_mov_b32 s16, 0xbf6f5d39
	v_pk_fma_f32 v[34:35], v[10:11], v[36:37], v[2:3] op_sel:[0,0,1] op_sel_hi:[1,1,0]
	v_pk_fma_f32 v[2:3], v[10:11], v[36:37], v[2:3] op_sel:[0,0,1] op_sel_hi:[0,1,0] neg_lo:[0,0,1] neg_hi:[0,0,1]
	v_mov_b32_e32 v35, v3
	v_pk_mul_f32 v[2:3], v[20:21], v[38:39] op_sel:[1,0]
	ds_read2_b64 v[8:11], v245 offset0:68 offset1:102
	v_pk_fma_f32 v[12:13], v[20:21], v[38:39], v[2:3] op_sel:[0,0,1] op_sel_hi:[1,1,0]
	v_pk_fma_f32 v[2:3], v[20:21], v[38:39], v[2:3] op_sel:[0,0,1] op_sel_hi:[0,1,0] neg_lo:[0,0,1] neg_hi:[0,0,1]
	v_mov_b32_e32 v13, v3
	s_waitcnt lgkmcnt(2)
	v_pk_mul_f32 v[2:3], v[22:23], v[40:41] op_sel:[1,0]
	v_pk_add_f32 v[60:61], v[48:49], v[12:13]
	v_pk_fma_f32 v[14:15], v[22:23], v[40:41], v[2:3] op_sel:[0,0,1] op_sel_hi:[1,1,0]
	v_pk_fma_f32 v[2:3], v[22:23], v[40:41], v[2:3] op_sel:[0,0,1] op_sel_hi:[0,1,0] neg_lo:[0,0,1] neg_hi:[0,0,1]
	v_mov_b32_e32 v15, v3
	v_pk_mul_f32 v[2:3], v[16:17], v[42:43] op_sel:[1,0]
	s_mov_b32 s14, 0xbeb58ec6
	v_pk_fma_f32 v[20:21], v[16:17], v[42:43], v[2:3] op_sel:[0,0,1] op_sel_hi:[1,1,0]
	v_pk_fma_f32 v[2:3], v[16:17], v[42:43], v[2:3] op_sel:[0,0,1] op_sel_hi:[0,1,0] neg_lo:[0,0,1] neg_hi:[0,0,1]
	v_mov_b32_e32 v21, v3
	s_waitcnt lgkmcnt(1)
	v_pk_mul_f32 v[2:3], v[18:19], v[44:45] op_sel:[1,0]
	v_pk_add_f32 v[64:65], v[28:29], v[34:35] neg_lo:[0,1] neg_hi:[0,1]
	v_pk_fma_f32 v[16:17], v[18:19], v[44:45], v[2:3] op_sel:[0,0,1] op_sel_hi:[1,1,0]
	v_pk_fma_f32 v[2:3], v[18:19], v[44:45], v[2:3] op_sel:[0,0,1] op_sel_hi:[0,1,0] neg_lo:[0,0,1] neg_hi:[0,0,1]
	v_mov_b32_e32 v17, v3
	v_pk_mul_f32 v[2:3], v[4:5], v[26:27] op_sel:[1,0]
	s_mov_b32 s22, 0xbf29c268
	v_pk_fma_f32 v[18:19], v[4:5], v[26:27], v[2:3] op_sel:[0,0,1] op_sel_hi:[1,1,0]
	v_pk_fma_f32 v[2:3], v[4:5], v[26:27], v[2:3] op_sel:[0,0,1] op_sel_hi:[0,1,0] neg_lo:[0,0,1] neg_hi:[0,0,1]
	v_mov_b32_e32 v19, v3
	s_waitcnt lgkmcnt(0)
	v_pk_mul_f32 v[2:3], v[6:7], v[8:9] op_sel:[1,0]
	v_pk_add_f32 v[44:45], v[18:19], v[16:17] neg_lo:[0,1] neg_hi:[0,1]
	v_pk_fma_f32 v[4:5], v[6:7], v[8:9], v[2:3] op_sel:[0,0,1] op_sel_hi:[1,1,0]
	v_pk_fma_f32 v[2:3], v[6:7], v[8:9], v[2:3] op_sel:[0,0,1] op_sel_hi:[0,1,0] neg_lo:[0,0,1] neg_hi:[0,0,1]
	v_mov_b32_e32 v5, v3
	v_pk_mul_f32 v[2:3], v[0:1], v[10:11] op_sel:[1,0]
	v_pk_add_f32 v[42:43], v[18:19], v[16:17]
	v_pk_fma_f32 v[8:9], v[0:1], v[10:11], v[2:3] op_sel:[0,0,1] op_sel_hi:[1,1,0]
	v_pk_fma_f32 v[0:1], v[0:1], v[10:11], v[2:3] op_sel:[0,0,1] op_sel_hi:[0,1,0] neg_lo:[0,0,1] neg_hi:[0,0,1]
	v_mov_b32_e32 v9, v1
	v_pk_add_f32 v[0:1], v[24:25], v[18:19]
	v_pk_mul_f32 v[2:3], v[44:45], s[2:3] op_sel_hi:[1,0]
	v_pk_add_f32 v[0:1], v[0:1], v[4:5]
	v_pk_add_f32 v[50:51], v[4:5], v[20:21] neg_lo:[0,1] neg_hi:[0,1]
	v_pk_add_f32 v[0:1], v[0:1], v[8:9]
	v_pk_add_f32 v[46:47], v[4:5], v[20:21]
	;; [unrolled: 1-line block ×3, first 2 shown]
	s_mov_b32 s2, 0x3f116cb1
	v_pk_add_f32 v[0:1], v[0:1], v[28:29]
	v_pk_add_f32 v[54:55], v[8:9], v[14:15] neg_lo:[0,1] neg_hi:[0,1]
	v_pk_add_f32 v[0:1], v[0:1], v[30:31]
	v_pk_add_f32 v[52:53], v[8:9], v[14:15]
	;; [unrolled: 1-line block ×3, first 2 shown]
	v_pk_add_f32 v[48:49], v[48:49], v[12:13] neg_lo:[0,1] neg_hi:[0,1]
	v_pk_add_f32 v[0:1], v[0:1], v[34:35]
	v_pk_add_f32 v[62:63], v[28:29], v[34:35]
	;; [unrolled: 1-line block ×3, first 2 shown]
	s_mov_b32 s18, 0xbf3f9e67
	v_pk_add_f32 v[0:1], v[0:1], v[14:15]
	v_pk_add_f32 v[68:69], v[30:31], v[32:33] neg_lo:[0,1] neg_hi:[0,1]
	v_pk_add_f32 v[0:1], v[0:1], v[20:21]
	s_mov_b32 s26, 0xbe750f2a
	v_pk_add_f32 v[26:27], v[0:1], v[16:17]
	v_pk_fma_f32 v[0:1], v[42:43], s[0:1], v[2:3] op_sel:[0,0,1] op_sel_hi:[1,0,0]
	v_pk_fma_f32 v[2:3], v[42:43], s[0:1], v[2:3] op_sel:[0,0,1] op_sel_hi:[1,0,0] neg_lo:[0,0,1] neg_hi:[0,0,1]
	v_mov_b32_e32 v6, v0
	v_mov_b32_e32 v7, v3
	v_pk_add_f32 v[10:11], v[24:25], v[6:7]
	v_pk_mul_f32 v[6:7], v[50:51], s[20:21] op_sel_hi:[1,0]
	v_pk_add_f32 v[66:67], v[30:31], v[32:33]
	v_pk_fma_f32 v[4:5], v[46:47], s[2:3], v[6:7] op_sel:[0,0,1] op_sel_hi:[1,0,0]
	v_pk_fma_f32 v[6:7], v[46:47], s[2:3], v[6:7] op_sel:[0,0,1] op_sel_hi:[1,0,0] neg_lo:[0,0,1] neg_hi:[0,0,1]
	v_mov_b32_e32 v16, v4
	v_mov_b32_e32 v17, v7
	v_pk_add_f32 v[16:17], v[16:17], v[10:11]
	v_pk_mul_f32 v[10:11], v[54:55], s[30:31] op_sel_hi:[1,0]
	s_mov_b32 s24, 0xbf788fa5
	v_pk_fma_f32 v[8:9], v[52:53], s[10:11], v[10:11] op_sel:[0,0,1] op_sel_hi:[1,0,0]
	v_pk_fma_f32 v[10:11], v[52:53], s[10:11], v[10:11] op_sel:[0,0,1] op_sel_hi:[1,0,0] neg_lo:[0,0,1] neg_hi:[0,0,1]
	v_mov_b32_e32 v14, v8
	v_mov_b32_e32 v15, v11
	v_pk_add_f32 v[16:17], v[14:15], v[16:17]
	v_pk_mul_f32 v[14:15], v[48:49], s[16:17] op_sel_hi:[1,0]
	ds_write_b64 v252, v[26:27]
	v_pk_fma_f32 v[12:13], v[60:61], s[14:15], v[14:15] op_sel:[0,0,1] op_sel_hi:[1,0,0]
	v_pk_fma_f32 v[14:15], v[60:61], s[14:15], v[14:15] op_sel:[0,0,1] op_sel_hi:[1,0,0] neg_lo:[0,0,1] neg_hi:[0,0,1]
	v_mov_b32_e32 v18, v12
	v_mov_b32_e32 v19, v15
	v_pk_add_f32 v[20:21], v[18:19], v[16:17]
	v_pk_mul_f32 v[18:19], v[64:65], s[22:23] op_sel_hi:[1,0]
	v_pk_mul_f32 v[32:33], v[50:51], s[16:17] op_sel_hi:[1,0]
	v_pk_fma_f32 v[16:17], v[62:63], s[18:19], v[18:19] op_sel:[0,0,1] op_sel_hi:[1,0,0]
	v_pk_fma_f32 v[18:19], v[62:63], s[18:19], v[18:19] op_sel:[0,0,1] op_sel_hi:[1,0,0] neg_lo:[0,0,1] neg_hi:[0,0,1]
	v_mov_b32_e32 v22, v16
	v_mov_b32_e32 v23, v19
	v_pk_add_f32 v[28:29], v[22:23], v[20:21]
	v_pk_mul_f32 v[22:23], v[68:69], s[26:27] op_sel_hi:[1,0]
	s_mov_b32 s36, 0x3f29c268
	v_pk_fma_f32 v[20:21], v[66:67], s[24:25], v[22:23] op_sel:[0,0,1] op_sel_hi:[1,0,0]
	v_pk_fma_f32 v[22:23], v[66:67], s[24:25], v[22:23] op_sel:[0,0,1] op_sel_hi:[1,0,0] neg_lo:[0,0,1] neg_hi:[0,0,1]
	v_mov_b32_e32 v30, v20
	v_mov_b32_e32 v31, v23
	v_pk_add_f32 v[70:71], v[30:31], v[28:29]
	v_pk_mul_f32 v[28:29], v[44:45], s[20:21] op_sel_hi:[1,0]
	s_mov_b32 s28, 0x3f7e222b
	v_pk_fma_f32 v[26:27], v[42:43], s[2:3], v[28:29] op_sel:[0,0,1] op_sel_hi:[1,0,0]
	v_pk_fma_f32 v[28:29], v[42:43], s[2:3], v[28:29] op_sel:[0,0,1] op_sel_hi:[1,0,0] neg_lo:[0,0,1] neg_hi:[0,0,1]
	v_mov_b32_e32 v30, v26
	v_mov_b32_e32 v31, v29
	v_pk_add_f32 v[34:35], v[24:25], v[30:31]
	v_pk_fma_f32 v[30:31], v[46:47], s[14:15], v[32:33] op_sel:[0,0,1] op_sel_hi:[1,0,0]
	v_pk_fma_f32 v[32:33], v[46:47], s[14:15], v[32:33] op_sel:[0,0,1] op_sel_hi:[1,0,0] neg_lo:[0,0,1] neg_hi:[0,0,1]
	v_mov_b32_e32 v36, v30
	v_mov_b32_e32 v37, v33
	v_pk_add_f32 v[38:39], v[36:37], v[34:35]
	v_pk_mul_f32 v[36:37], v[54:55], s[26:27] op_sel_hi:[1,0]
	s_mov_b32 s34, 0x3eedf032
	v_pk_fma_f32 v[34:35], v[52:53], s[24:25], v[36:37] op_sel:[0,0,1] op_sel_hi:[1,0,0]
	v_pk_fma_f32 v[36:37], v[52:53], s[24:25], v[36:37] op_sel:[0,0,1] op_sel_hi:[1,0,0] neg_lo:[0,0,1] neg_hi:[0,0,1]
	v_mov_b32_e32 v40, v34
	v_mov_b32_e32 v41, v37
	v_pk_add_f32 v[72:73], v[40:41], v[38:39]
	v_pk_mul_f32 v[40:41], v[48:49], s[36:37] op_sel_hi:[1,0]
	v_pk_mul_f32 v[84:85], v[50:51], s[26:27] op_sel_hi:[1,0]
	v_pk_fma_f32 v[38:39], v[60:61], s[18:19], v[40:41] op_sel:[0,0,1] op_sel_hi:[1,0,0]
	v_pk_fma_f32 v[40:41], v[60:61], s[18:19], v[40:41] op_sel:[0,0,1] op_sel_hi:[1,0,0] neg_lo:[0,0,1] neg_hi:[0,0,1]
	v_mov_b32_e32 v74, v38
	v_mov_b32_e32 v75, v41
	v_pk_add_f32 v[72:73], v[74:75], v[72:73]
	v_pk_mul_f32 v[74:75], v[64:65], s[28:29] op_sel_hi:[1,0]
	v_pk_fma_f32 v[86:87], v[46:47], s[24:25], v[84:85] op_sel:[0,0,1] op_sel_hi:[1,0,0]
	v_pk_fma_f32 v[76:77], v[62:63], s[10:11], v[74:75] op_sel:[0,0,1] op_sel_hi:[1,0,0]
	v_pk_fma_f32 v[74:75], v[62:63], s[10:11], v[74:75] op_sel:[0,0,1] op_sel_hi:[1,0,0] neg_lo:[0,0,1] neg_hi:[0,0,1]
	v_mov_b32_e32 v78, v76
	v_mov_b32_e32 v79, v75
	v_pk_add_f32 v[72:73], v[78:79], v[72:73]
	v_pk_mul_f32 v[78:79], v[68:69], s[34:35] op_sel_hi:[1,0]
	v_pk_fma_f32 v[84:85], v[46:47], s[24:25], v[84:85] op_sel:[0,0,1] op_sel_hi:[1,0,0] neg_lo:[0,0,1] neg_hi:[0,0,1]
	v_pk_fma_f32 v[80:81], v[66:67], s[0:1], v[78:79] op_sel:[0,0,1] op_sel_hi:[1,0,0]
	v_pk_fma_f32 v[78:79], v[66:67], s[0:1], v[78:79] op_sel:[0,0,1] op_sel_hi:[1,0,0] neg_lo:[0,0,1] neg_hi:[0,0,1]
	v_mov_b32_e32 v82, v80
	v_mov_b32_e32 v83, v79
	v_pk_add_f32 v[72:73], v[82:83], v[72:73]
	ds_write2_b64 v252, v[70:71], v[72:73] offset0:34 offset1:68
	v_pk_mul_f32 v[70:71], v[44:45], s[30:31] op_sel_hi:[1,0]
	v_mov_b32_e32 v88, v86
	v_pk_fma_f32 v[72:73], v[42:43], s[10:11], v[70:71] op_sel:[0,0,1] op_sel_hi:[1,0,0]
	v_pk_fma_f32 v[70:71], v[42:43], s[10:11], v[70:71] op_sel:[0,0,1] op_sel_hi:[1,0,0] neg_lo:[0,0,1] neg_hi:[0,0,1]
	v_mov_b32_e32 v82, v72
	v_mov_b32_e32 v83, v71
	v_pk_add_f32 v[82:83], v[24:25], v[82:83]
	v_mov_b32_e32 v89, v85
	s_mov_b32 s38, 0x3f6f5d39
	v_pk_add_f32 v[82:83], v[88:89], v[82:83]
	v_pk_mul_f32 v[88:89], v[54:55], s[38:39] op_sel_hi:[1,0]
	v_pk_mul_f32 v[110:111], v[50:51], s[36:37] op_sel_hi:[1,0]
	v_pk_fma_f32 v[90:91], v[52:53], s[14:15], v[88:89] op_sel:[0,0,1] op_sel_hi:[1,0,0]
	v_pk_fma_f32 v[88:89], v[52:53], s[14:15], v[88:89] op_sel:[0,0,1] op_sel_hi:[1,0,0] neg_lo:[0,0,1] neg_hi:[0,0,1]
	v_mov_b32_e32 v92, v90
	v_mov_b32_e32 v93, v89
	v_pk_add_f32 v[82:83], v[92:93], v[82:83]
	v_pk_mul_f32 v[92:93], v[48:49], s[34:35] op_sel_hi:[1,0]
	v_pk_fma_f32 v[112:113], v[46:47], s[18:19], v[110:111] op_sel:[0,0,1] op_sel_hi:[1,0,0]
	v_pk_fma_f32 v[94:95], v[60:61], s[0:1], v[92:93] op_sel:[0,0,1] op_sel_hi:[1,0,0]
	v_pk_fma_f32 v[92:93], v[60:61], s[0:1], v[92:93] op_sel:[0,0,1] op_sel_hi:[1,0,0] neg_lo:[0,0,1] neg_hi:[0,0,1]
	v_mov_b32_e32 v96, v94
	v_mov_b32_e32 v97, v93
	v_pk_add_f32 v[82:83], v[96:97], v[82:83]
	v_pk_mul_f32 v[96:97], v[64:65], s[20:21] op_sel_hi:[1,0]
	v_pk_fma_f32 v[110:111], v[46:47], s[18:19], v[110:111] op_sel:[0,0,1] op_sel_hi:[1,0,0] neg_lo:[0,0,1] neg_hi:[0,0,1]
	v_pk_fma_f32 v[98:99], v[62:63], s[2:3], v[96:97] op_sel:[0,0,1] op_sel_hi:[1,0,0]
	v_pk_fma_f32 v[96:97], v[62:63], s[2:3], v[96:97] op_sel:[0,0,1] op_sel_hi:[1,0,0] neg_lo:[0,0,1] neg_hi:[0,0,1]
	v_mov_b32_e32 v100, v98
	v_mov_b32_e32 v101, v97
	v_pk_add_f32 v[82:83], v[100:101], v[82:83]
	v_pk_mul_f32 v[100:101], v[68:69], s[22:23] op_sel_hi:[1,0]
	v_mov_b32_e32 v114, v112
	v_pk_fma_f32 v[102:103], v[66:67], s[18:19], v[100:101] op_sel:[0,0,1] op_sel_hi:[1,0,0]
	v_pk_fma_f32 v[100:101], v[66:67], s[18:19], v[100:101] op_sel:[0,0,1] op_sel_hi:[1,0,0] neg_lo:[0,0,1] neg_hi:[0,0,1]
	v_mov_b32_e32 v104, v102
	v_mov_b32_e32 v105, v101
	v_pk_add_f32 v[82:83], v[104:105], v[82:83]
	v_pk_mul_f32 v[104:105], v[44:45], s[16:17] op_sel_hi:[1,0]
	v_mov_b32_e32 v115, v111
	v_pk_fma_f32 v[106:107], v[42:43], s[14:15], v[104:105] op_sel:[0,0,1] op_sel_hi:[1,0,0]
	v_pk_fma_f32 v[104:105], v[42:43], s[14:15], v[104:105] op_sel:[0,0,1] op_sel_hi:[1,0,0] neg_lo:[0,0,1] neg_hi:[0,0,1]
	v_mov_b32_e32 v108, v106
	v_mov_b32_e32 v109, v105
	v_pk_add_f32 v[108:109], v[24:25], v[108:109]
	s_mov_b32 s36, 0x3f52af12
	v_pk_add_f32 v[108:109], v[114:115], v[108:109]
	v_pk_mul_f32 v[114:115], v[54:55], s[34:35] op_sel_hi:[1,0]
	v_pk_mul_f32 v[132:133], v[50:51], s[28:29] op_sel_hi:[1,0]
	v_pk_fma_f32 v[116:117], v[52:53], s[0:1], v[114:115] op_sel:[0,0,1] op_sel_hi:[1,0,0]
	v_pk_fma_f32 v[114:115], v[52:53], s[0:1], v[114:115] op_sel:[0,0,1] op_sel_hi:[1,0,0] neg_lo:[0,0,1] neg_hi:[0,0,1]
	v_mov_b32_e32 v118, v116
	v_mov_b32_e32 v119, v115
	v_pk_add_f32 v[108:109], v[118:119], v[108:109]
	v_pk_mul_f32 v[118:119], v[48:49], s[30:31] op_sel_hi:[1,0]
	s_mov_b32 s30, 0x3e750f2a
	v_pk_fma_f32 v[120:121], v[60:61], s[10:11], v[118:119] op_sel:[0,0,1] op_sel_hi:[1,0,0]
	v_pk_fma_f32 v[118:119], v[60:61], s[10:11], v[118:119] op_sel:[0,0,1] op_sel_hi:[1,0,0] neg_lo:[0,0,1] neg_hi:[0,0,1]
	v_mov_b32_e32 v122, v120
	v_mov_b32_e32 v123, v119
	v_pk_add_f32 v[108:109], v[122:123], v[108:109]
	v_pk_mul_f32 v[122:123], v[64:65], s[30:31] op_sel_hi:[1,0]
	v_pk_fma_f32 v[134:135], v[46:47], s[10:11], v[132:133] op_sel:[0,0,1] op_sel_hi:[1,0,0]
	v_pk_fma_f32 v[124:125], v[62:63], s[24:25], v[122:123] op_sel:[0,0,1] op_sel_hi:[1,0,0]
	v_pk_fma_f32 v[122:123], v[62:63], s[24:25], v[122:123] op_sel:[0,0,1] op_sel_hi:[1,0,0] neg_lo:[0,0,1] neg_hi:[0,0,1]
	v_mov_b32_e32 v126, v124
	v_mov_b32_e32 v127, v123
	v_pk_add_f32 v[108:109], v[126:127], v[108:109]
	v_pk_mul_f32 v[126:127], v[68:69], s[36:37] op_sel_hi:[1,0]
	v_pk_fma_f32 v[132:133], v[46:47], s[10:11], v[132:133] op_sel:[0,0,1] op_sel_hi:[1,0,0] neg_lo:[0,0,1] neg_hi:[0,0,1]
	v_pk_fma_f32 v[128:129], v[66:67], s[2:3], v[126:127] op_sel:[0,0,1] op_sel_hi:[1,0,0]
	v_pk_fma_f32 v[126:127], v[66:67], s[2:3], v[126:127] op_sel:[0,0,1] op_sel_hi:[1,0,0] neg_lo:[0,0,1] neg_hi:[0,0,1]
	v_mov_b32_e32 v130, v128
	v_mov_b32_e32 v131, v127
	v_pk_add_f32 v[108:109], v[130:131], v[108:109]
	ds_write2_b64 v252, v[82:83], v[108:109] offset0:102 offset1:136
	v_pk_mul_f32 v[82:83], v[44:45], s[22:23] op_sel_hi:[1,0]
	v_mov_b32_e32 v136, v134
	v_pk_fma_f32 v[108:109], v[42:43], s[18:19], v[82:83] op_sel:[0,0,1] op_sel_hi:[1,0,0]
	v_pk_fma_f32 v[82:83], v[42:43], s[18:19], v[82:83] op_sel:[0,0,1] op_sel_hi:[1,0,0] neg_lo:[0,0,1] neg_hi:[0,0,1]
	v_mov_b32_e32 v130, v108
	v_mov_b32_e32 v131, v83
	v_pk_add_f32 v[130:131], v[24:25], v[130:131]
	v_mov_b32_e32 v137, v133
	v_pk_add_f32 v[130:131], v[136:137], v[130:131]
	v_pk_mul_f32 v[136:137], v[54:55], s[20:21] op_sel_hi:[1,0]
	v_pk_mul_f32 v[44:45], v[44:45], s[26:27] op_sel_hi:[1,0]
	v_pk_fma_f32 v[138:139], v[52:53], s[2:3], v[136:137] op_sel:[0,0,1] op_sel_hi:[1,0,0]
	v_pk_fma_f32 v[136:137], v[52:53], s[2:3], v[136:137] op_sel:[0,0,1] op_sel_hi:[1,0,0] neg_lo:[0,0,1] neg_hi:[0,0,1]
	v_mov_b32_e32 v140, v138
	v_mov_b32_e32 v141, v137
	v_pk_add_f32 v[130:131], v[140:141], v[130:131]
	v_pk_mul_f32 v[140:141], v[48:49], s[30:31] op_sel_hi:[1,0]
	v_pk_mul_f32 v[50:51], v[50:51], s[34:35] op_sel_hi:[1,0]
	v_pk_fma_f32 v[142:143], v[60:61], s[24:25], v[140:141] op_sel:[0,0,1] op_sel_hi:[1,0,0]
	v_pk_fma_f32 v[140:141], v[60:61], s[24:25], v[140:141] op_sel:[0,0,1] op_sel_hi:[1,0,0] neg_lo:[0,0,1] neg_hi:[0,0,1]
	v_mov_b32_e32 v144, v142
	v_mov_b32_e32 v145, v141
	v_pk_add_f32 v[130:131], v[144:145], v[130:131]
	v_pk_mul_f32 v[144:145], v[64:65], s[34:35] op_sel_hi:[1,0]
	v_pk_fma_f32 v[154:155], v[46:47], s[0:1], v[50:51] op_sel:[0,0,1] op_sel_hi:[1,0,0]
	v_pk_fma_f32 v[146:147], v[62:63], s[0:1], v[144:145] op_sel:[0,0,1] op_sel_hi:[1,0,0]
	v_pk_fma_f32 v[144:145], v[62:63], s[0:1], v[144:145] op_sel:[0,0,1] op_sel_hi:[1,0,0] neg_lo:[0,0,1] neg_hi:[0,0,1]
	v_mov_b32_e32 v148, v146
	v_mov_b32_e32 v149, v145
	v_pk_add_f32 v[130:131], v[148:149], v[130:131]
	v_pk_mul_f32 v[148:149], v[68:69], s[16:17] op_sel_hi:[1,0]
	v_pk_fma_f32 v[46:47], v[46:47], s[0:1], v[50:51] op_sel:[0,0,1] op_sel_hi:[1,0,0] neg_lo:[0,0,1] neg_hi:[0,0,1]
	v_pk_fma_f32 v[150:151], v[66:67], s[14:15], v[148:149] op_sel:[0,0,1] op_sel_hi:[1,0,0]
	v_pk_fma_f32 v[148:149], v[66:67], s[14:15], v[148:149] op_sel:[0,0,1] op_sel_hi:[1,0,0] neg_lo:[0,0,1] neg_hi:[0,0,1]
	v_mov_b32_e32 v152, v150
	v_mov_b32_e32 v153, v149
	v_pk_add_f32 v[130:131], v[152:153], v[130:131]
	v_pk_fma_f32 v[152:153], v[42:43], s[24:25], v[44:45] op_sel:[0,0,1] op_sel_hi:[1,0,0]
	v_pk_fma_f32 v[42:43], v[42:43], s[24:25], v[44:45] op_sel:[0,0,1] op_sel_hi:[1,0,0] neg_lo:[0,0,1] neg_hi:[0,0,1]
	v_mov_b32_e32 v44, v152
	v_mov_b32_e32 v45, v43
	v_pk_add_f32 v[44:45], v[24:25], v[44:45]
	v_mov_b32_e32 v50, v154
	v_mov_b32_e32 v51, v47
	v_pk_add_f32 v[44:45], v[50:51], v[44:45]
	v_pk_mul_f32 v[50:51], v[54:55], s[22:23] op_sel_hi:[1,0]
	v_pk_mul_f32 v[48:49], v[48:49], s[36:37] op_sel_hi:[1,0]
	v_pk_fma_f32 v[54:55], v[52:53], s[18:19], v[50:51] op_sel:[0,0,1] op_sel_hi:[1,0,0]
	v_pk_fma_f32 v[50:51], v[52:53], s[18:19], v[50:51] op_sel:[0,0,1] op_sel_hi:[1,0,0] neg_lo:[0,0,1] neg_hi:[0,0,1]
	v_mov_b32_e32 v52, v54
	v_mov_b32_e32 v53, v51
	v_pk_add_f32 v[44:45], v[52:53], v[44:45]
	v_pk_fma_f32 v[52:53], v[60:61], s[2:3], v[48:49] op_sel:[0,0,1] op_sel_hi:[1,0,0]
	v_pk_fma_f32 v[48:49], v[60:61], s[2:3], v[48:49] op_sel:[0,0,1] op_sel_hi:[1,0,0] neg_lo:[0,0,1] neg_hi:[0,0,1]
	v_mov_b32_e32 v60, v52
	v_mov_b32_e32 v61, v49
	v_pk_add_f32 v[44:45], v[60:61], v[44:45]
	v_pk_mul_f32 v[60:61], v[64:65], s[16:17] op_sel_hi:[1,0]
	v_mov_b32_e32 v43, v153
	v_pk_fma_f32 v[64:65], v[62:63], s[14:15], v[60:61] op_sel:[0,0,1] op_sel_hi:[1,0,0]
	v_pk_fma_f32 v[60:61], v[62:63], s[14:15], v[60:61] op_sel:[0,0,1] op_sel_hi:[1,0,0] neg_lo:[0,0,1] neg_hi:[0,0,1]
	v_mov_b32_e32 v62, v64
	v_mov_b32_e32 v63, v61
	v_pk_add_f32 v[44:45], v[62:63], v[44:45]
	v_pk_mul_f32 v[62:63], v[68:69], s[28:29] op_sel_hi:[1,0]
	v_mov_b32_e32 v83, v109
	v_pk_fma_f32 v[68:69], v[66:67], s[10:11], v[62:63] op_sel:[0,0,1] op_sel_hi:[1,0,0]
	v_pk_fma_f32 v[62:63], v[66:67], s[10:11], v[62:63] op_sel:[0,0,1] op_sel_hi:[1,0,0] neg_lo:[0,0,1] neg_hi:[0,0,1]
	v_mov_b32_e32 v66, v68
	v_mov_b32_e32 v67, v63
	v_pk_add_f32 v[44:45], v[66:67], v[44:45]
	ds_write2_b64 v252, v[130:131], v[44:45] offset0:170 offset1:204
	v_pk_add_f32 v[42:43], v[24:25], v[42:43]
	v_mov_b32_e32 v47, v155
	v_pk_add_f32 v[44:45], v[24:25], v[82:83]
	v_mov_b32_e32 v133, v135
	;; [unrolled: 2-line block ×10, first 2 shown]
	v_pk_add_f32 v[42:43], v[62:63], v[42:43]
	v_pk_add_f32 v[44:45], v[148:149], v[44:45]
	v_add_u32_e32 v8, 0x400, v252
	v_mov_b32_e32 v105, v107
	v_mov_b32_e32 v71, v73
	;; [unrolled: 1-line block ×4, first 2 shown]
	ds_write2_b64 v8, v[42:43], v[44:45] offset0:110 offset1:144
	v_pk_add_f32 v[42:43], v[24:25], v[104:105]
	v_mov_b32_e32 v111, v113
	v_pk_add_f32 v[44:45], v[24:25], v[70:71]
	v_mov_b32_e32 v85, v87
	;; [unrolled: 2-line block ×20, first 2 shown]
	v_pk_add_f32 v[42:43], v[126:127], v[42:43]
	v_pk_add_f32 v[44:45], v[100:101], v[44:45]
	v_add_u32_e32 v4, 0x800, v252
	v_pk_add_f32 v[26:27], v[78:79], v[26:27]
	v_pk_add_f32 v[0:1], v[22:23], v[0:1]
	ds_write2_b64 v4, v[42:43], v[44:45] offset0:50 offset1:84
	ds_write2_b64 v4, v[26:27], v[0:1] offset0:118 offset1:152
	s_waitcnt lgkmcnt(0)
	s_barrier
	s_and_b64 exec, exec, vcc
	s_cbranch_execz .LBB0_23
; %bb.22:
	global_load_dwordx2 v[2:3], v59, s[8:9]
	ds_read_b64 v[10:11], v252
	v_mad_u64_u32 v[6:7], s[0:1], s6, v58, 0
	v_mad_u64_u32 v[12:13], s[2:3], s4, v56, 0
	v_mov_b32_e32 v14, v7
	s_mov_b32 s0, 0x1288b013
	v_mov_b32_e32 v16, v13
	v_mad_u64_u32 v[14:15], s[2:3], s7, v58, v[14:15]
	v_mov_b32_e32 v0, s12
	v_mov_b32_e32 v1, s13
	s_mov_b32 s1, 0x3f6288b0
	v_mad_u64_u32 v[16:17], s[2:3], s5, v56, v[16:17]
	v_mov_b32_e32 v7, v14
	v_mov_b32_e32 v13, v16
	v_lshl_add_u64 v[0:1], v[6:7], 3, v[0:1]
	v_lshl_add_u64 v[6:7], v[12:13], 3, v[0:1]
	v_mov_b32_e32 v14, 0xd0
	s_mul_i32 s2, s5, 0xd0
	s_waitcnt vmcnt(0) lgkmcnt(0)
	v_mul_f32_e32 v5, v11, v3
	v_mul_f32_e32 v3, v10, v3
	v_fmac_f32_e32 v5, v10, v2
	v_fma_f32 v9, v2, v11, -v3
	v_cvt_f64_f32_e32 v[2:3], v5
	v_cvt_f64_f32_e32 v[10:11], v9
	v_mul_f64 v[2:3], v[2:3], s[0:1]
	v_mul_f64 v[10:11], v[10:11], s[0:1]
	v_cvt_f32_f64_e32 v2, v[2:3]
	v_cvt_f32_f64_e32 v3, v[10:11]
	global_store_dwordx2 v[6:7], v[2:3], off
	global_load_dwordx2 v[2:3], v59, s[8:9] offset:208
	ds_read2_b64 v[10:13], v252 offset0:26 offset1:52
	v_mad_u64_u32 v[6:7], s[6:7], s4, v14, v[6:7]
	v_add_u32_e32 v7, s2, v7
	s_waitcnt vmcnt(0) lgkmcnt(0)
	v_mul_f32_e32 v5, v11, v3
	v_mul_f32_e32 v3, v10, v3
	v_fmac_f32_e32 v5, v10, v2
	v_fma_f32 v9, v2, v11, -v3
	v_cvt_f64_f32_e32 v[2:3], v5
	v_cvt_f64_f32_e32 v[10:11], v9
	v_mul_f64 v[2:3], v[2:3], s[0:1]
	v_mul_f64 v[10:11], v[10:11], s[0:1]
	v_cvt_f32_f64_e32 v2, v[2:3]
	v_cvt_f32_f64_e32 v3, v[10:11]
	global_store_dwordx2 v[6:7], v[2:3], off
	global_load_dwordx2 v[2:3], v59, s[8:9] offset:416
	v_mad_u64_u32 v[6:7], s[6:7], s4, v14, v[6:7]
	v_add_u32_e32 v7, s2, v7
	s_waitcnt vmcnt(0)
	v_mul_f32_e32 v5, v13, v3
	v_mul_f32_e32 v3, v12, v3
	v_fmac_f32_e32 v5, v12, v2
	v_fma_f32 v9, v2, v13, -v3
	v_cvt_f64_f32_e32 v[2:3], v5
	v_cvt_f64_f32_e32 v[10:11], v9
	v_mul_f64 v[2:3], v[2:3], s[0:1]
	v_mul_f64 v[10:11], v[10:11], s[0:1]
	v_cvt_f32_f64_e32 v2, v[2:3]
	v_cvt_f32_f64_e32 v3, v[10:11]
	global_store_dwordx2 v[6:7], v[2:3], off
	global_load_dwordx2 v[2:3], v59, s[8:9] offset:624
	ds_read2_b64 v[10:13], v252 offset0:78 offset1:104
	v_mad_u64_u32 v[6:7], s[6:7], s4, v14, v[6:7]
	v_add_u32_e32 v7, s2, v7
	s_waitcnt vmcnt(0) lgkmcnt(0)
	v_mul_f32_e32 v5, v11, v3
	v_mul_f32_e32 v3, v10, v3
	v_fmac_f32_e32 v5, v10, v2
	v_fma_f32 v9, v2, v11, -v3
	v_cvt_f64_f32_e32 v[2:3], v5
	v_cvt_f64_f32_e32 v[10:11], v9
	v_mul_f64 v[2:3], v[2:3], s[0:1]
	v_mul_f64 v[10:11], v[10:11], s[0:1]
	v_cvt_f32_f64_e32 v2, v[2:3]
	v_cvt_f32_f64_e32 v3, v[10:11]
	global_store_dwordx2 v[6:7], v[2:3], off
	global_load_dwordx2 v[2:3], v59, s[8:9] offset:832
	v_mad_u64_u32 v[6:7], s[6:7], s4, v14, v[6:7]
	v_add_u32_e32 v7, s2, v7
	s_waitcnt vmcnt(0)
	;; [unrolled: 31-line block ×7, first 2 shown]
	v_mul_f32_e32 v5, v9, v3
	v_mul_f32_e32 v3, v8, v3
	v_fmac_f32_e32 v5, v8, v2
	v_fma_f32 v8, v2, v9, -v3
	v_cvt_f64_f32_e32 v[2:3], v5
	v_cvt_f64_f32_e32 v[8:9], v8
	v_mul_f64 v[2:3], v[2:3], s[0:1]
	v_mul_f64 v[8:9], v[8:9], s[0:1]
	v_cvt_f32_f64_e32 v2, v[2:3]
	v_cvt_f32_f64_e32 v3, v[8:9]
	global_store_dwordx2 v[6:7], v[2:3], off
	global_load_dwordx2 v[8:9], v59, s[8:9] offset:3120
	ds_read2_b64 v[2:5], v4 offset0:134 offset1:160
	v_mad_u64_u32 v[6:7], s[6:7], s4, v14, v[6:7]
	v_add_u32_e32 v7, s2, v7
	s_waitcnt vmcnt(0) lgkmcnt(0)
	v_mul_f32_e32 v10, v3, v9
	v_mul_f32_e32 v9, v2, v9
	v_fmac_f32_e32 v10, v2, v8
	v_fma_f32 v8, v8, v3, -v9
	v_cvt_f64_f32_e32 v[2:3], v10
	v_cvt_f64_f32_e32 v[8:9], v8
	v_mul_f64 v[2:3], v[2:3], s[0:1]
	v_mul_f64 v[8:9], v[8:9], s[0:1]
	v_cvt_f32_f64_e32 v2, v[2:3]
	v_cvt_f32_f64_e32 v3, v[8:9]
	global_store_dwordx2 v[6:7], v[2:3], off
	global_load_dwordx2 v[2:3], v59, s[8:9] offset:3328
	v_or_b32_e32 v9, 0x1a0, v56
	v_mad_u64_u32 v[6:7], s[2:3], s4, v9, 0
	v_mov_b32_e32 v8, v7
	v_mad_u64_u32 v[8:9], s[2:3], s5, v9, v[8:9]
	v_mov_b32_e32 v7, v8
	v_lshl_add_u64 v[0:1], v[6:7], 3, v[0:1]
	s_waitcnt vmcnt(0)
	v_mul_f32_e32 v8, v5, v3
	v_mul_f32_e32 v3, v4, v3
	v_fmac_f32_e32 v8, v4, v2
	v_fma_f32 v4, v2, v5, -v3
	v_cvt_f64_f32_e32 v[2:3], v8
	v_cvt_f64_f32_e32 v[4:5], v4
	v_mul_f64 v[2:3], v[2:3], s[0:1]
	v_mul_f64 v[4:5], v[4:5], s[0:1]
	v_cvt_f32_f64_e32 v2, v[2:3]
	v_cvt_f32_f64_e32 v3, v[4:5]
	global_store_dwordx2 v[0:1], v[2:3], off
.LBB0_23:
	s_endpgm
	.section	.rodata,"a",@progbits
	.p2align	6, 0x0
	.amdhsa_kernel bluestein_single_fwd_len442_dim1_sp_op_CI_CI
		.amdhsa_group_segment_fixed_size 24752
		.amdhsa_private_segment_fixed_size 0
		.amdhsa_kernarg_size 104
		.amdhsa_user_sgpr_count 2
		.amdhsa_user_sgpr_dispatch_ptr 0
		.amdhsa_user_sgpr_queue_ptr 0
		.amdhsa_user_sgpr_kernarg_segment_ptr 1
		.amdhsa_user_sgpr_dispatch_id 0
		.amdhsa_user_sgpr_kernarg_preload_length 0
		.amdhsa_user_sgpr_kernarg_preload_offset 0
		.amdhsa_user_sgpr_private_segment_size 0
		.amdhsa_uses_dynamic_stack 0
		.amdhsa_enable_private_segment 0
		.amdhsa_system_sgpr_workgroup_id_x 1
		.amdhsa_system_sgpr_workgroup_id_y 0
		.amdhsa_system_sgpr_workgroup_id_z 0
		.amdhsa_system_sgpr_workgroup_info 0
		.amdhsa_system_vgpr_workitem_id 0
		.amdhsa_next_free_vgpr 276
		.amdhsa_next_free_sgpr 76
		.amdhsa_accum_offset 256
		.amdhsa_reserve_vcc 1
		.amdhsa_float_round_mode_32 0
		.amdhsa_float_round_mode_16_64 0
		.amdhsa_float_denorm_mode_32 3
		.amdhsa_float_denorm_mode_16_64 3
		.amdhsa_dx10_clamp 1
		.amdhsa_ieee_mode 1
		.amdhsa_fp16_overflow 0
		.amdhsa_tg_split 0
		.amdhsa_exception_fp_ieee_invalid_op 0
		.amdhsa_exception_fp_denorm_src 0
		.amdhsa_exception_fp_ieee_div_zero 0
		.amdhsa_exception_fp_ieee_overflow 0
		.amdhsa_exception_fp_ieee_underflow 0
		.amdhsa_exception_fp_ieee_inexact 0
		.amdhsa_exception_int_div_zero 0
	.end_amdhsa_kernel
	.text
.Lfunc_end0:
	.size	bluestein_single_fwd_len442_dim1_sp_op_CI_CI, .Lfunc_end0-bluestein_single_fwd_len442_dim1_sp_op_CI_CI
                                        ; -- End function
	.section	.AMDGPU.csdata,"",@progbits
; Kernel info:
; codeLenInByte = 20300
; NumSgprs: 82
; NumVgprs: 256
; NumAgprs: 20
; TotalNumVgprs: 276
; ScratchSize: 0
; MemoryBound: 0
; FloatMode: 240
; IeeeMode: 1
; LDSByteSize: 24752 bytes/workgroup (compile time only)
; SGPRBlocks: 10
; VGPRBlocks: 34
; NumSGPRsForWavesPerEU: 82
; NumVGPRsForWavesPerEU: 276
; AccumOffset: 256
; Occupancy: 1
; WaveLimiterHint : 1
; COMPUTE_PGM_RSRC2:SCRATCH_EN: 0
; COMPUTE_PGM_RSRC2:USER_SGPR: 2
; COMPUTE_PGM_RSRC2:TRAP_HANDLER: 0
; COMPUTE_PGM_RSRC2:TGID_X_EN: 1
; COMPUTE_PGM_RSRC2:TGID_Y_EN: 0
; COMPUTE_PGM_RSRC2:TGID_Z_EN: 0
; COMPUTE_PGM_RSRC2:TIDIG_COMP_CNT: 0
; COMPUTE_PGM_RSRC3_GFX90A:ACCUM_OFFSET: 63
; COMPUTE_PGM_RSRC3_GFX90A:TG_SPLIT: 0
	.text
	.p2alignl 6, 3212836864
	.fill 256, 4, 3212836864
	.type	__hip_cuid_de592a669a7060f9,@object ; @__hip_cuid_de592a669a7060f9
	.section	.bss,"aw",@nobits
	.globl	__hip_cuid_de592a669a7060f9
__hip_cuid_de592a669a7060f9:
	.byte	0                               ; 0x0
	.size	__hip_cuid_de592a669a7060f9, 1

	.ident	"AMD clang version 19.0.0git (https://github.com/RadeonOpenCompute/llvm-project roc-6.4.0 25133 c7fe45cf4b819c5991fe208aaa96edf142730f1d)"
	.section	".note.GNU-stack","",@progbits
	.addrsig
	.addrsig_sym __hip_cuid_de592a669a7060f9
	.amdgpu_metadata
---
amdhsa.kernels:
  - .agpr_count:     20
    .args:
      - .actual_access:  read_only
        .address_space:  global
        .offset:         0
        .size:           8
        .value_kind:     global_buffer
      - .actual_access:  read_only
        .address_space:  global
        .offset:         8
        .size:           8
        .value_kind:     global_buffer
      - .actual_access:  read_only
        .address_space:  global
        .offset:         16
        .size:           8
        .value_kind:     global_buffer
      - .actual_access:  read_only
        .address_space:  global
        .offset:         24
        .size:           8
        .value_kind:     global_buffer
      - .actual_access:  read_only
        .address_space:  global
        .offset:         32
        .size:           8
        .value_kind:     global_buffer
      - .offset:         40
        .size:           8
        .value_kind:     by_value
      - .address_space:  global
        .offset:         48
        .size:           8
        .value_kind:     global_buffer
      - .address_space:  global
        .offset:         56
        .size:           8
        .value_kind:     global_buffer
      - .address_space:  global
        .offset:         64
        .size:           8
        .value_kind:     global_buffer
      - .address_space:  global
        .offset:         72
        .size:           8
        .value_kind:     global_buffer
      - .offset:         80
        .size:           4
        .value_kind:     by_value
      - .address_space:  global
        .offset:         88
        .size:           8
        .value_kind:     global_buffer
      - .address_space:  global
        .offset:         96
        .size:           8
        .value_kind:     global_buffer
    .group_segment_fixed_size: 24752
    .kernarg_segment_align: 8
    .kernarg_segment_size: 104
    .language:       OpenCL C
    .language_version:
      - 2
      - 0
    .max_flat_workgroup_size: 238
    .name:           bluestein_single_fwd_len442_dim1_sp_op_CI_CI
    .private_segment_fixed_size: 0
    .sgpr_count:     82
    .sgpr_spill_count: 0
    .symbol:         bluestein_single_fwd_len442_dim1_sp_op_CI_CI.kd
    .uniform_work_group_size: 1
    .uses_dynamic_stack: false
    .vgpr_count:     276
    .vgpr_spill_count: 0
    .wavefront_size: 64
amdhsa.target:   amdgcn-amd-amdhsa--gfx950
amdhsa.version:
  - 1
  - 2
...

	.end_amdgpu_metadata
